;; amdgpu-corpus repo=ROCm/rocFFT kind=compiled arch=gfx906 opt=O3
	.text
	.amdgcn_target "amdgcn-amd-amdhsa--gfx906"
	.amdhsa_code_object_version 6
	.protected	fft_rtc_fwd_len578_factors_17_17_2_wgs_238_tpt_34_halfLds_dp_ip_CI_sbrr_dirReg ; -- Begin function fft_rtc_fwd_len578_factors_17_17_2_wgs_238_tpt_34_halfLds_dp_ip_CI_sbrr_dirReg
	.globl	fft_rtc_fwd_len578_factors_17_17_2_wgs_238_tpt_34_halfLds_dp_ip_CI_sbrr_dirReg
	.p2align	8
	.type	fft_rtc_fwd_len578_factors_17_17_2_wgs_238_tpt_34_halfLds_dp_ip_CI_sbrr_dirReg,@function
fft_rtc_fwd_len578_factors_17_17_2_wgs_238_tpt_34_halfLds_dp_ip_CI_sbrr_dirReg: ; @fft_rtc_fwd_len578_factors_17_17_2_wgs_238_tpt_34_halfLds_dp_ip_CI_sbrr_dirReg
; %bb.0:
	s_mov_b64 s[62:63], s[2:3]
	s_mov_b64 s[60:61], s[0:1]
	s_load_dwordx2 s[2:3], s[4:5], 0x18
	s_load_dwordx4 s[8:11], s[4:5], 0x0
	s_load_dwordx2 s[14:15], s[4:5], 0x50
	v_mul_u32_u24_e32 v1, 0x788, v0
	v_lshrrev_b32_e32 v1, 16, v1
	v_mad_u64_u32 v[68:69], s[0:1], s6, 7, v[1:2]
	s_waitcnt lgkmcnt(0)
	s_load_dwordx2 s[12:13], s[2:3], 0x0
	v_mov_b32_e32 v3, 0
	v_cmp_lt_u64_e64 s[0:1], s[10:11], 2
	s_add_u32 s60, s60, s7
	v_mov_b32_e32 v69, v3
	v_mov_b32_e32 v1, 0
	;; [unrolled: 1-line block ×3, first 2 shown]
	s_addc_u32 s61, s61, 0
	s_and_b64 vcc, exec, s[0:1]
	v_mov_b32_e32 v2, 0
	v_mov_b32_e32 v8, v69
	s_cbranch_vccnz .LBB0_8
; %bb.1:
	s_load_dwordx2 s[0:1], s[4:5], 0x10
	s_add_u32 s6, s2, 8
	s_addc_u32 s7, s3, 0
	v_mov_b32_e32 v1, 0
	v_mov_b32_e32 v5, v68
	s_waitcnt lgkmcnt(0)
	s_add_u32 s18, s0, 8
	s_mov_b64 s[16:17], 1
	v_mov_b32_e32 v2, 0
	s_addc_u32 s19, s1, 0
	v_mov_b32_e32 v6, v69
.LBB0_2:                                ; =>This Inner Loop Header: Depth=1
	s_load_dwordx2 s[20:21], s[18:19], 0x0
                                        ; implicit-def: $vgpr7_vgpr8
	s_waitcnt lgkmcnt(0)
	v_or_b32_e32 v4, s21, v6
	v_cmp_ne_u64_e32 vcc, 0, v[3:4]
	s_and_saveexec_b64 s[0:1], vcc
	s_xor_b64 s[22:23], exec, s[0:1]
	s_cbranch_execz .LBB0_4
; %bb.3:                                ;   in Loop: Header=BB0_2 Depth=1
	v_cvt_f32_u32_e32 v4, s20
	v_cvt_f32_u32_e32 v7, s21
	s_sub_u32 s0, 0, s20
	s_subb_u32 s1, 0, s21
	v_mac_f32_e32 v4, 0x4f800000, v7
	v_rcp_f32_e32 v4, v4
	v_mul_f32_e32 v4, 0x5f7ffffc, v4
	v_mul_f32_e32 v7, 0x2f800000, v4
	v_trunc_f32_e32 v7, v7
	v_mac_f32_e32 v4, 0xcf800000, v7
	v_cvt_u32_f32_e32 v7, v7
	v_cvt_u32_f32_e32 v4, v4
	v_mul_lo_u32 v8, s0, v7
	v_mul_hi_u32 v9, s0, v4
	v_mul_lo_u32 v11, s1, v4
	v_mul_lo_u32 v10, s0, v4
	v_add_u32_e32 v8, v9, v8
	v_add_u32_e32 v8, v8, v11
	v_mul_hi_u32 v9, v4, v10
	v_mul_lo_u32 v11, v4, v8
	v_mul_hi_u32 v13, v4, v8
	v_mul_hi_u32 v12, v7, v10
	v_mul_lo_u32 v10, v7, v10
	v_mul_hi_u32 v14, v7, v8
	v_add_co_u32_e32 v9, vcc, v9, v11
	v_addc_co_u32_e32 v11, vcc, 0, v13, vcc
	v_mul_lo_u32 v8, v7, v8
	v_add_co_u32_e32 v9, vcc, v9, v10
	v_addc_co_u32_e32 v9, vcc, v11, v12, vcc
	v_addc_co_u32_e32 v10, vcc, 0, v14, vcc
	v_add_co_u32_e32 v8, vcc, v9, v8
	v_addc_co_u32_e32 v9, vcc, 0, v10, vcc
	v_add_co_u32_e32 v4, vcc, v4, v8
	v_addc_co_u32_e32 v7, vcc, v7, v9, vcc
	v_mul_lo_u32 v8, s0, v7
	v_mul_hi_u32 v9, s0, v4
	v_mul_lo_u32 v10, s1, v4
	v_mul_lo_u32 v11, s0, v4
	v_add_u32_e32 v8, v9, v8
	v_add_u32_e32 v8, v8, v10
	v_mul_lo_u32 v12, v4, v8
	v_mul_hi_u32 v13, v4, v11
	v_mul_hi_u32 v14, v4, v8
	;; [unrolled: 1-line block ×3, first 2 shown]
	v_mul_lo_u32 v11, v7, v11
	v_mul_hi_u32 v9, v7, v8
	v_add_co_u32_e32 v12, vcc, v13, v12
	v_addc_co_u32_e32 v13, vcc, 0, v14, vcc
	v_mul_lo_u32 v8, v7, v8
	v_add_co_u32_e32 v11, vcc, v12, v11
	v_addc_co_u32_e32 v10, vcc, v13, v10, vcc
	v_addc_co_u32_e32 v9, vcc, 0, v9, vcc
	v_add_co_u32_e32 v8, vcc, v10, v8
	v_addc_co_u32_e32 v9, vcc, 0, v9, vcc
	v_add_co_u32_e32 v4, vcc, v4, v8
	v_addc_co_u32_e32 v9, vcc, v7, v9, vcc
	v_mad_u64_u32 v[7:8], s[0:1], v5, v9, 0
	v_mul_hi_u32 v10, v5, v4
	v_add_co_u32_e32 v11, vcc, v10, v7
	v_addc_co_u32_e32 v12, vcc, 0, v8, vcc
	v_mad_u64_u32 v[7:8], s[0:1], v6, v4, 0
	v_mad_u64_u32 v[9:10], s[0:1], v6, v9, 0
	v_add_co_u32_e32 v4, vcc, v11, v7
	v_addc_co_u32_e32 v4, vcc, v12, v8, vcc
	v_addc_co_u32_e32 v7, vcc, 0, v10, vcc
	v_add_co_u32_e32 v4, vcc, v4, v9
	v_addc_co_u32_e32 v9, vcc, 0, v7, vcc
	v_mul_lo_u32 v10, s21, v4
	v_mul_lo_u32 v11, s20, v9
	v_mad_u64_u32 v[7:8], s[0:1], s20, v4, 0
	v_add3_u32 v8, v8, v11, v10
	v_sub_u32_e32 v10, v6, v8
	v_mov_b32_e32 v11, s21
	v_sub_co_u32_e32 v7, vcc, v5, v7
	v_subb_co_u32_e64 v10, s[0:1], v10, v11, vcc
	v_subrev_co_u32_e64 v11, s[0:1], s20, v7
	v_subbrev_co_u32_e64 v10, s[0:1], 0, v10, s[0:1]
	v_cmp_le_u32_e64 s[0:1], s21, v10
	v_cndmask_b32_e64 v12, 0, -1, s[0:1]
	v_cmp_le_u32_e64 s[0:1], s20, v11
	v_cndmask_b32_e64 v11, 0, -1, s[0:1]
	v_cmp_eq_u32_e64 s[0:1], s21, v10
	v_cndmask_b32_e64 v10, v12, v11, s[0:1]
	v_add_co_u32_e64 v11, s[0:1], 2, v4
	v_addc_co_u32_e64 v12, s[0:1], 0, v9, s[0:1]
	v_add_co_u32_e64 v13, s[0:1], 1, v4
	v_addc_co_u32_e64 v14, s[0:1], 0, v9, s[0:1]
	v_subb_co_u32_e32 v8, vcc, v6, v8, vcc
	v_cmp_ne_u32_e64 s[0:1], 0, v10
	v_cmp_le_u32_e32 vcc, s21, v8
	v_cndmask_b32_e64 v10, v14, v12, s[0:1]
	v_cndmask_b32_e64 v12, 0, -1, vcc
	v_cmp_le_u32_e32 vcc, s20, v7
	v_cndmask_b32_e64 v7, 0, -1, vcc
	v_cmp_eq_u32_e32 vcc, s21, v8
	v_cndmask_b32_e32 v7, v12, v7, vcc
	v_cmp_ne_u32_e32 vcc, 0, v7
	v_cndmask_b32_e64 v7, v13, v11, s[0:1]
	v_cndmask_b32_e32 v8, v9, v10, vcc
	v_cndmask_b32_e32 v7, v4, v7, vcc
.LBB0_4:                                ;   in Loop: Header=BB0_2 Depth=1
	s_andn2_saveexec_b64 s[0:1], s[22:23]
	s_cbranch_execz .LBB0_6
; %bb.5:                                ;   in Loop: Header=BB0_2 Depth=1
	v_cvt_f32_u32_e32 v4, s20
	s_sub_i32 s22, 0, s20
	v_rcp_iflag_f32_e32 v4, v4
	v_mul_f32_e32 v4, 0x4f7ffffe, v4
	v_cvt_u32_f32_e32 v4, v4
	v_mul_lo_u32 v7, s22, v4
	v_mul_hi_u32 v7, v4, v7
	v_add_u32_e32 v4, v4, v7
	v_mul_hi_u32 v4, v5, v4
	v_mul_lo_u32 v7, v4, s20
	v_add_u32_e32 v8, 1, v4
	v_sub_u32_e32 v7, v5, v7
	v_subrev_u32_e32 v9, s20, v7
	v_cmp_le_u32_e32 vcc, s20, v7
	v_cndmask_b32_e32 v7, v7, v9, vcc
	v_cndmask_b32_e32 v4, v4, v8, vcc
	v_add_u32_e32 v8, 1, v4
	v_cmp_le_u32_e32 vcc, s20, v7
	v_cndmask_b32_e32 v7, v4, v8, vcc
	v_mov_b32_e32 v8, v3
.LBB0_6:                                ;   in Loop: Header=BB0_2 Depth=1
	s_or_b64 exec, exec, s[0:1]
	v_mul_lo_u32 v4, v8, s20
	v_mul_lo_u32 v11, v7, s21
	v_mad_u64_u32 v[9:10], s[0:1], v7, s20, 0
	s_load_dwordx2 s[0:1], s[6:7], 0x0
	s_add_u32 s16, s16, 1
	v_add3_u32 v4, v10, v11, v4
	v_sub_co_u32_e32 v5, vcc, v5, v9
	v_subb_co_u32_e32 v4, vcc, v6, v4, vcc
	s_waitcnt lgkmcnt(0)
	v_mul_lo_u32 v4, s0, v4
	v_mul_lo_u32 v6, s1, v5
	v_mad_u64_u32 v[1:2], s[0:1], s0, v5, v[1:2]
	s_addc_u32 s17, s17, 0
	s_add_u32 s6, s6, 8
	v_add3_u32 v2, v6, v2, v4
	v_mov_b32_e32 v4, s10
	v_mov_b32_e32 v5, s11
	s_addc_u32 s7, s7, 0
	v_cmp_ge_u64_e32 vcc, s[16:17], v[4:5]
	s_add_u32 s18, s18, 8
	s_addc_u32 s19, s19, 0
	s_cbranch_vccnz .LBB0_8
; %bb.7:                                ;   in Loop: Header=BB0_2 Depth=1
	v_mov_b32_e32 v5, v7
	v_mov_b32_e32 v6, v8
	s_branch .LBB0_2
.LBB0_8:
	s_lshl_b64 s[0:1], s[10:11], 3
	s_add_u32 s0, s2, s0
	s_addc_u32 s1, s3, s1
	s_load_dwordx2 s[2:3], s[0:1], 0x0
	s_load_dwordx2 s[6:7], s[4:5], 0x20
                                        ; implicit-def: $vgpr91
                                        ; implicit-def: $vgpr85
                                        ; implicit-def: $vgpr86
                                        ; implicit-def: $vgpr87
                                        ; implicit-def: $vgpr88
                                        ; implicit-def: $vgpr89
                                        ; implicit-def: $vgpr81
                                        ; implicit-def: $vgpr82
	s_waitcnt lgkmcnt(0)
	v_mad_u64_u32 v[1:2], s[0:1], s2, v7, v[1:2]
	s_mov_b32 s0, 0x7878788
	v_mul_lo_u32 v3, s2, v8
	v_mul_lo_u32 v4, s3, v7
	v_mul_hi_u32 v5, v0, s0
	v_cmp_gt_u64_e32 vcc, s[6:7], v[7:8]
	v_cmp_le_u64_e64 s[0:1], s[6:7], v[7:8]
	v_add3_u32 v2, v4, v2, v3
	v_mul_u32_u24_e32 v3, 34, v5
	v_sub_u32_e32 v80, v0, v3
	v_add_u32_e32 v138, 34, v80
	s_and_saveexec_b64 s[2:3], s[0:1]
	s_xor_b64 s[0:1], exec, s[2:3]
; %bb.9:
	v_add_u32_e32 v91, 34, v80
	v_add_u32_e32 v85, 0x44, v80
	;; [unrolled: 1-line block ×8, first 2 shown]
; %bb.10:
	s_or_saveexec_b64 s[2:3], s[0:1]
	v_lshlrev_b64 v[0:1], 4, v[1:2]
                                        ; implicit-def: $vgpr6_vgpr7
                                        ; implicit-def: $vgpr14_vgpr15
                                        ; implicit-def: $vgpr10_vgpr11
                                        ; implicit-def: $vgpr18_vgpr19
                                        ; implicit-def: $vgpr22_vgpr23
                                        ; implicit-def: $vgpr26_vgpr27
                                        ; implicit-def: $vgpr30_vgpr31
                                        ; implicit-def: $vgpr34_vgpr35
                                        ; implicit-def: $vgpr38_vgpr39
                                        ; implicit-def: $vgpr42_vgpr43
                                        ; implicit-def: $vgpr54_vgpr55
                                        ; implicit-def: $vgpr62_vgpr63
                                        ; implicit-def: $vgpr66_vgpr67
                                        ; implicit-def: $vgpr58_vgpr59
                                        ; implicit-def: $vgpr50_vgpr51
                                        ; implicit-def: $vgpr46_vgpr47
                                        ; implicit-def: $vgpr2_vgpr3
	buffer_store_dword v0, off, s[60:63], 0 ; 4-byte Folded Spill
	s_nop 0
	buffer_store_dword v1, off, s[60:63], 0 offset:4 ; 4-byte Folded Spill
	s_xor_b64 exec, exec, s[2:3]
	s_cbranch_execz .LBB0_12
; %bb.11:
	buffer_load_dword v5, off, s[60:63], 0  ; 4-byte Folded Reload
	buffer_load_dword v6, off, s[60:63], 0 offset:4 ; 4-byte Folded Reload
	v_mad_u64_u32 v[0:1], s[0:1], s12, v80, 0
	v_mov_b32_e32 v4, s15
	v_add_u32_e32 v85, 0x44, v80
	v_mad_u64_u32 v[1:2], s[0:1], s13, v80, v[1:2]
	v_mad_u64_u32 v[2:3], s[0:1], s12, v138, 0
	v_lshlrev_b64 v[0:1], 4, v[0:1]
	v_add_u32_e32 v86, 0x66, v80
	v_add_u32_e32 v87, 0x88, v80
	;; [unrolled: 1-line block ×6, first 2 shown]
	s_waitcnt vmcnt(1)
	v_add_co_u32_e64 v10, s[0:1], s14, v5
	s_waitcnt vmcnt(0)
	v_addc_co_u32_e64 v11, s[0:1], v4, v6, s[0:1]
	v_mad_u64_u32 v[3:4], s[0:1], s13, v138, v[3:4]
	v_mad_u64_u32 v[4:5], s[0:1], s12, v85, 0
	v_add_co_u32_e64 v6, s[0:1], v10, v0
	v_addc_co_u32_e64 v7, s[0:1], v11, v1, s[0:1]
	v_lshlrev_b64 v[0:1], 4, v[2:3]
	v_mov_b32_e32 v2, v5
	v_mad_u64_u32 v[2:3], s[0:1], s13, v85, v[2:3]
	v_mad_u64_u32 v[8:9], s[0:1], s12, v86, 0
	v_add_co_u32_e64 v12, s[0:1], v10, v0
	v_mov_b32_e32 v5, v2
	v_mov_b32_e32 v2, v9
	v_addc_co_u32_e64 v13, s[0:1], v11, v1, s[0:1]
	v_mad_u64_u32 v[2:3], s[0:1], s13, v86, v[2:3]
	v_lshlrev_b64 v[0:1], 4, v[4:5]
	v_mad_u64_u32 v[3:4], s[0:1], s12, v87, 0
	v_add_co_u32_e64 v14, s[0:1], v10, v0
	v_mov_b32_e32 v9, v2
	v_addc_co_u32_e64 v15, s[0:1], v11, v1, s[0:1]
	v_lshlrev_b64 v[0:1], 4, v[8:9]
	v_mov_b32_e32 v2, v4
	v_mad_u64_u32 v[8:9], s[0:1], s12, v88, 0
	v_mad_u64_u32 v[4:5], s[0:1], s13, v87, v[2:3]
	v_add_co_u32_e64 v69, s[0:1], v10, v0
	v_mov_b32_e32 v2, v9
	v_addc_co_u32_e64 v70, s[0:1], v11, v1, s[0:1]
	v_lshlrev_b64 v[0:1], 4, v[3:4]
	v_mad_u64_u32 v[2:3], s[0:1], s13, v88, v[2:3]
	v_mad_u64_u32 v[3:4], s[0:1], s12, v89, 0
	v_add_co_u32_e64 v71, s[0:1], v10, v0
	v_mov_b32_e32 v9, v2
	v_addc_co_u32_e64 v72, s[0:1], v11, v1, s[0:1]
	v_lshlrev_b64 v[0:1], 4, v[8:9]
	v_mov_b32_e32 v2, v4
	v_mad_u64_u32 v[8:9], s[0:1], s12, v81, 0
	v_mad_u64_u32 v[4:5], s[0:1], s13, v89, v[2:3]
	v_add_co_u32_e64 v73, s[0:1], v10, v0
	v_mov_b32_e32 v2, v9
	v_addc_co_u32_e64 v74, s[0:1], v11, v1, s[0:1]
	v_lshlrev_b64 v[0:1], 4, v[3:4]
	v_mad_u64_u32 v[2:3], s[0:1], s13, v81, v[2:3]
	v_mad_u64_u32 v[3:4], s[0:1], s12, v82, 0
	v_add_co_u32_e64 v75, s[0:1], v10, v0
	v_mov_b32_e32 v9, v2
	v_mov_b32_e32 v2, v4
	v_addc_co_u32_e64 v76, s[0:1], v11, v1, s[0:1]
	v_mad_u64_u32 v[4:5], s[0:1], s13, v82, v[2:3]
	v_add_u32_e32 v5, 0x132, v80
	v_lshlrev_b64 v[0:1], 4, v[8:9]
	v_mad_u64_u32 v[8:9], s[0:1], s12, v5, 0
	v_add_co_u32_e64 v77, s[0:1], v10, v0
	v_mov_b32_e32 v2, v9
	v_addc_co_u32_e64 v78, s[0:1], v11, v1, s[0:1]
	v_lshlrev_b64 v[0:1], 4, v[3:4]
	v_mad_u64_u32 v[2:3], s[0:1], s13, v5, v[2:3]
	v_add_u32_e32 v5, 0x154, v80
	v_mad_u64_u32 v[3:4], s[0:1], s12, v5, 0
	v_add_co_u32_e64 v90, s[0:1], v10, v0
	v_mov_b32_e32 v9, v2
	v_mov_b32_e32 v2, v4
	v_addc_co_u32_e64 v91, s[0:1], v11, v1, s[0:1]
	v_mad_u64_u32 v[4:5], s[0:1], s13, v5, v[2:3]
	v_add_u32_e32 v5, 0x176, v80
	v_lshlrev_b64 v[0:1], 4, v[8:9]
	v_mad_u64_u32 v[8:9], s[0:1], s12, v5, 0
	v_add_co_u32_e64 v92, s[0:1], v10, v0
	v_mov_b32_e32 v2, v9
	v_addc_co_u32_e64 v93, s[0:1], v11, v1, s[0:1]
	v_lshlrev_b64 v[0:1], 4, v[3:4]
	v_mad_u64_u32 v[2:3], s[0:1], s13, v5, v[2:3]
	v_add_u32_e32 v5, 0x198, v80
	;; [unrolled: 15-line block ×4, first 2 shown]
	v_mad_u64_u32 v[3:4], s[0:1], s12, v5, 0
	v_add_co_u32_e64 v102, s[0:1], v10, v0
	v_mov_b32_e32 v9, v2
	v_mov_b32_e32 v2, v4
	v_addc_co_u32_e64 v103, s[0:1], v11, v1, s[0:1]
	v_mad_u64_u32 v[4:5], s[0:1], s13, v5, v[2:3]
	v_lshlrev_b64 v[0:1], 4, v[8:9]
	v_add_co_u32_e64 v104, s[0:1], v10, v0
	v_addc_co_u32_e64 v105, s[0:1], v11, v1, s[0:1]
	v_lshlrev_b64 v[0:1], 4, v[3:4]
	v_add_co_u32_e64 v106, s[0:1], v10, v0
	v_addc_co_u32_e64 v107, s[0:1], v11, v1, s[0:1]
	global_load_dwordx4 v[0:3], v[6:7], off
	global_load_dwordx4 v[44:47], v[12:13], off
	;; [unrolled: 1-line block ×15, first 2 shown]
                                        ; kill: killed $vgpr102 killed $vgpr103
                                        ; kill: killed $vgpr14 killed $vgpr15
                                        ; kill: killed $vgpr73 killed $vgpr74
                                        ; kill: killed $vgpr90 killed $vgpr91
                                        ; kill: killed $vgpr12 killed $vgpr13
                                        ; kill: killed $vgpr92 killed $vgpr93
                                        ; kill: killed $vgpr71 killed $vgpr72
                                        ; kill: killed $vgpr94 killed $vgpr95
                                        ; kill: killed $vgpr77 killed $vgpr78
                                        ; kill: killed $vgpr96 killed $vgpr97
                                        ; kill: killed $vgpr6 killed $vgpr7
                                        ; kill: killed $vgpr69 killed $vgpr70
                                        ; kill: killed $vgpr98 killed $vgpr99
                                        ; kill: killed $vgpr75 killed $vgpr76
                                        ; kill: killed $vgpr100 killed $vgpr101
	global_load_dwordx4 v[12:15], v[104:105], off
	global_load_dwordx4 v[4:7], v[106:107], off
	v_mov_b32_e32 v91, v138
.LBB0_12:
	s_or_b64 exec, exec, s[2:3]
	s_waitcnt vmcnt(15)
	v_add_f64 v[71:72], v[44:45], v[0:1]
	v_add_f64 v[73:74], v[46:47], v[2:3]
	s_waitcnt vmcnt(5)
	v_add_f64 v[112:113], v[24:25], v[52:53]
	v_add_f64 v[98:99], v[52:53], -v[24:25]
	v_add_f64 v[110:111], v[28:29], v[40:41]
	v_add_f64 v[92:93], v[40:41], -v[28:29]
	v_add_f64 v[102:103], v[54:55], -v[26:27]
	v_add_f64 v[108:109], v[32:33], v[36:37]
	v_add_f64 v[77:78], v[48:49], v[71:72]
	;; [unrolled: 1-line block ×3, first 2 shown]
	v_add_f64 v[75:76], v[36:37], -v[32:33]
	v_add_f64 v[71:72], v[30:31], v[42:43]
	v_add_f64 v[100:101], v[42:43], -v[30:31]
	v_add_f64 v[69:70], v[34:35], v[38:39]
	v_add_f64 v[94:95], v[38:39], -v[34:35]
	s_waitcnt vmcnt(4)
	v_add_f64 v[114:115], v[20:21], v[60:61]
	v_add_f64 v[96:97], v[56:57], v[77:78]
	;; [unrolled: 1-line block ×4, first 2 shown]
	v_add_f64 v[106:107], v[60:61], -v[20:21]
	v_add_f64 v[77:78], v[22:23], v[62:63]
	s_waitcnt vmcnt(3)
	v_add_f64 v[116:117], v[16:17], v[64:65]
	s_mov_b32 s26, 0x370991
	s_mov_b32 s22, 0x75d4884
	v_add_f64 v[118:119], v[64:65], v[96:97]
	v_add_f64 v[120:121], v[66:67], v[104:105]
	v_add_f64 v[104:105], v[62:63], -v[22:23]
	v_add_f64 v[64:65], v[64:65], -v[16:17]
	v_add_f64 v[96:97], v[18:19], v[66:67]
	v_add_f64 v[66:67], v[66:67], -v[18:19]
	s_mov_b32 s28, 0x2a9d6da3
	s_mov_b32 s4, 0x2b2883cd
	v_add_f64 v[124:125], v[60:61], v[118:119]
	v_add_f64 v[120:121], v[62:63], v[120:121]
	s_waitcnt vmcnt(2)
	v_add_f64 v[118:119], v[8:9], v[56:57]
	v_add_f64 v[62:63], v[56:57], -v[8:9]
	v_add_f64 v[60:61], v[10:11], v[58:59]
	v_add_f64 v[58:59], v[58:59], -v[10:11]
	s_mov_b32 s6, 0x3259b75e
	s_mov_b32 s10, 0xc61f0d01
	v_add_f64 v[52:53], v[52:53], v[124:125]
	v_add_f64 v[54:55], v[54:55], v[120:121]
	s_waitcnt vmcnt(0)
	v_add_f64 v[120:121], v[4:5], v[44:45]
	v_add_f64 v[44:45], v[44:45], -v[4:5]
	s_mov_b32 s18, 0x6ed5f1bb
	s_mov_b32 s36, 0x910ea3b9
	;; [unrolled: 1-line block ×4, first 2 shown]
	v_add_f64 v[40:41], v[40:41], v[52:53]
	v_add_f64 v[42:43], v[42:43], v[54:55]
	s_mov_b32 s23, 0x3fe7a5f6
	s_mov_b32 s29, 0x3fe58eea
	;; [unrolled: 1-line block ×6, first 2 shown]
	v_add_f64 v[36:37], v[36:37], v[40:41]
	v_add_f64 v[38:39], v[38:39], v[42:43]
	s_mov_b32 s19, 0xbfe348c8
	s_mov_b32 s37, 0xbfeb34fa
	;; [unrolled: 1-line block ×4, first 2 shown]
	v_add_f64 v[122:123], v[12:13], v[48:49]
	v_add_f64 v[124:125], v[6:7], v[46:47]
	;; [unrolled: 1-line block ×4, first 2 shown]
	v_add_f64 v[46:47], v[46:47], -v[6:7]
	s_mov_b32 s34, 0x5d8e7cdc
	s_mov_b32 s20, 0x7c9e640b
	;; [unrolled: 1-line block ×5, first 2 shown]
	v_add_f64 v[28:29], v[28:29], v[32:33]
	v_add_f64 v[30:31], v[30:31], v[34:35]
	v_mul_f64 v[32:33], v[120:121], s[36:37]
	s_mov_b32 s56, 0x4363dd80
	s_mov_b32 s58, 0xacd6c6b4
	;; [unrolled: 1-line block ×5, first 2 shown]
	v_add_f64 v[24:25], v[24:25], v[28:29]
	v_add_f64 v[26:27], v[26:27], v[30:31]
	v_mul_f64 v[28:29], v[120:121], s[10:11]
	v_mul_f64 v[30:31], v[120:121], s[18:19]
	s_mov_b32 s55, 0xbfeca52d
	s_mov_b32 s17, 0x3fefdd0d
	s_mov_b32 s41, 0xbfefdd0d
	s_mov_b32 s53, 0x3feec746
	v_add_f64 v[20:21], v[20:21], v[24:25]
	v_add_f64 v[22:23], v[22:23], v[26:27]
	v_mul_f64 v[24:25], v[120:121], s[26:27]
	v_mul_f64 v[26:27], v[120:121], s[6:7]
	s_mov_b32 s25, 0xbfeec746
	s_mov_b32 s47, 0x3fe9895b
	s_mov_b32 s31, 0xbfe9895b
	s_mov_b32 s38, s34
	;; [unrolled: 8-line block ×3, first 2 shown]
	v_add_f64 v[8:9], v[8:9], v[16:17]
	v_add_f64 v[10:11], v[10:11], v[18:19]
	s_mov_b32 s57, 0x3fe0d888
	s_mov_b32 s43, 0xbfe0d888
	;; [unrolled: 1-line block ×6, first 2 shown]
	v_add_f64 v[8:9], v[12:13], v[8:9]
	v_add_f64 v[10:11], v[14:15], v[10:11]
	v_add_f64 v[56:57], v[14:15], v[50:51]
	v_add_f64 v[48:49], v[48:49], -v[12:13]
	v_add_f64 v[50:51], v[50:51], -v[14:15]
	v_fma_f64 v[16:17], v[46:47], s[34:35], v[24:25]
	v_fma_f64 v[18:19], v[46:47], s[38:39], v[24:25]
	;; [unrolled: 1-line block ×3, first 2 shown]
	v_add_f64 v[132:133], v[4:5], v[8:9]
	v_mul_f64 v[4:5], v[120:121], s[44:45]
	v_mul_f64 v[8:9], v[44:45], s[50:51]
	v_fma_f64 v[20:21], v[46:47], s[50:51], v[20:21]
	v_fma_f64 v[34:35], v[46:47], s[20:21], v[22:23]
	;; [unrolled: 1-line block ×9, first 2 shown]
	v_add_f64 v[28:29], v[6:7], v[10:11]
	v_fma_f64 v[128:129], v[46:47], s[56:57], v[32:33]
	v_fma_f64 v[32:33], v[46:47], s[42:43], v[32:33]
	v_mul_f64 v[6:7], v[44:45], s[38:39]
	v_fma_f64 v[134:135], v[46:47], s[58:59], v[4:5]
	v_mul_f64 v[10:11], v[44:45], s[54:55]
	v_fma_f64 v[136:137], v[46:47], s[48:49], v[4:5]
	v_fma_f64 v[14:15], v[124:125], s[22:23], v[8:9]
	v_mul_f64 v[30:31], v[44:45], s[40:41]
	v_fma_f64 v[120:121], v[124:125], s[22:23], -v[8:9]
	v_mul_f64 v[8:9], v[44:45], s[24:25]
	v_mul_f64 v[46:47], v[44:45], s[30:31]
	;; [unrolled: 1-line block ×5, first 2 shown]
	v_fma_f64 v[4:5], v[124:125], s[26:27], v[6:7]
	v_fma_f64 v[6:7], v[124:125], s[26:27], -v[6:7]
	v_fma_f64 v[126:127], v[124:125], s[4:5], v[10:11]
	v_fma_f64 v[10:11], v[124:125], s[4:5], -v[10:11]
	;; [unrolled: 2-line block ×7, first 2 shown]
	v_add_f64 v[124:125], v[0:1], v[16:17]
	v_fma_f64 v[155:156], v[50:51], s[28:29], v[52:53]
	v_mul_f64 v[46:47], v[118:119], s[4:5]
	v_add_f64 v[8:9], v[2:3], v[4:5]
	v_add_f64 v[157:158], v[0:1], v[24:25]
	;; [unrolled: 1-line block ×3, first 2 shown]
	v_mul_f64 v[14:15], v[116:117], s[6:7]
	v_add_f64 v[16:17], v[2:3], v[6:7]
	v_add_f64 v[54:55], v[0:1], v[20:21]
	;; [unrolled: 1-line block ×3, first 2 shown]
	v_fma_f64 v[124:125], v[58:59], s[20:21], v[46:47]
	v_add_f64 v[6:7], v[2:3], v[126:127]
	v_add_f64 v[20:21], v[2:3], v[10:11]
	;; [unrolled: 1-line block ×4, first 2 shown]
	v_fma_f64 v[26:27], v[66:67], s[16:17], v[14:15]
	v_mul_f64 v[12:13], v[114:115], s[10:11]
	v_add_f64 v[161:162], v[0:1], v[36:37]
	v_add_f64 v[10:11], v[124:125], v[24:25]
	;; [unrolled: 1-line block ×7, first 2 shown]
	v_fma_f64 v[40:41], v[104:105], s[52:53], v[12:13]
	v_add_f64 v[159:160], v[0:1], v[34:35]
	v_add_f64 v[38:39], v[26:27], v[10:11]
	v_mul_f64 v[10:11], v[112:113], s[18:19]
	v_add_f64 v[26:27], v[2:3], v[145:146]
	v_mul_f64 v[145:146], v[122:123], s[6:7]
	v_add_f64 v[120:121], v[0:1], v[22:23]
	v_add_f64 v[34:35], v[2:3], v[130:131]
	;; [unrolled: 1-line block ×10, first 2 shown]
	v_fma_f64 v[128:129], v[102:103], s[46:47], v[10:11]
	v_mul_f64 v[130:131], v[110:111], s[36:37]
	v_add_f64 v[32:33], v[2:3], v[149:150]
	v_fma_f64 v[149:150], v[50:51], s[16:17], v[145:146]
	v_mul_f64 v[163:164], v[122:123], s[18:19]
	v_mul_f64 v[165:166], v[118:119], s[18:19]
	v_add_f64 v[134:135], v[0:1], v[134:135]
	v_add_f64 v[38:39], v[2:3], v[151:152]
	;; [unrolled: 1-line block ×3, first 2 shown]
	v_fma_f64 v[151:152], v[100:101], s[56:57], v[130:131]
	v_add_f64 v[136:137], v[0:1], v[136:137]
	v_add_f64 v[0:1], v[149:150], v[157:158]
	v_fma_f64 v[149:150], v[50:51], s[46:47], v[163:164]
	v_fma_f64 v[157:158], v[58:59], s[46:47], v[165:166]
	v_mul_f64 v[167:168], v[118:119], s[44:45]
	v_mul_f64 v[169:170], v[116:117], s[44:45]
	;; [unrolled: 1-line block ×3, first 2 shown]
	v_add_f64 v[151:152], v[151:152], v[40:41]
	v_mul_f64 v[173:174], v[114:115], s[36:37]
	v_mul_f64 v[177:178], v[114:115], s[22:23]
	v_add_f64 v[40:41], v[149:150], v[159:160]
	v_add_f64 v[0:1], v[157:158], v[0:1]
	v_fma_f64 v[149:150], v[58:59], s[48:49], v[167:168]
	v_fma_f64 v[157:158], v[66:67], s[58:59], v[169:170]
	v_mul_f64 v[159:160], v[116:117], s[10:11]
	v_fma_f64 v[171:172], v[94:95], s[58:59], v[128:129]
	v_fma_f64 v[175:176], v[104:105], s[42:43], v[173:174]
	v_mul_f64 v[179:180], v[112:113], s[10:11]
	v_mul_f64 v[181:182], v[122:123], s[44:45]
	;; [unrolled: 1-line block ×3, first 2 shown]
	v_add_f64 v[149:150], v[149:150], v[40:41]
	v_add_f64 v[0:1], v[157:158], v[0:1]
	v_fma_f64 v[157:158], v[66:67], s[24:25], v[159:160]
	v_add_f64 v[40:41], v[2:3], v[153:154]
	v_add_f64 v[2:3], v[171:172], v[151:152]
	v_fma_f64 v[153:154], v[104:105], s[50:51], v[177:178]
	v_fma_f64 v[171:172], v[102:103], s[24:25], v[179:180]
	;; [unrolled: 1-line block ×3, first 2 shown]
	v_mul_f64 v[189:190], v[118:119], s[10:11]
	v_add_f64 v[0:1], v[175:176], v[0:1]
	v_add_f64 v[151:152], v[157:158], v[149:150]
	v_mul_f64 v[157:158], v[112:113], s[26:27]
	v_mul_f64 v[175:176], v[110:111], s[4:5]
	;; [unrolled: 1-line block ×4, first 2 shown]
	v_add_f64 v[155:156], v[187:188], v[155:156]
	v_fma_f64 v[187:188], v[58:59], s[24:25], v[189:190]
	v_add_f64 v[171:172], v[171:172], v[0:1]
	v_add_f64 v[151:152], v[153:154], v[151:152]
	v_fma_f64 v[153:154], v[102:103], s[34:35], v[157:158]
	v_fma_f64 v[183:184], v[100:101], s[54:55], v[175:176]
	v_mul_f64 v[195:196], v[116:117], s[26:27]
	v_mul_f64 v[199:200], v[108:109], s[36:37]
	s_mov_b32 s0, 0x24924925
	v_mul_hi_u32 v79, v68, s0
	v_mul_f64 v[201:202], v[116:117], s[4:5]
	v_fma_f64 v[203:204], v[94:95], s[38:39], v[193:194]
	v_add_f64 v[151:152], v[153:154], v[151:152]
	v_mul_f64 v[153:154], v[110:111], s[6:7]
	v_add_f64 v[171:172], v[183:184], v[171:172]
	v_fma_f64 v[183:184], v[50:51], s[42:43], v[185:186]
	v_add_f64 v[155:156], v[187:188], v[155:156]
	v_fma_f64 v[187:188], v[66:67], s[38:39], v[195:196]
	v_mul_f64 v[205:206], v[114:115], s[4:5]
	v_sub_u32_e32 v83, v68, v79
	v_lshrrev_b32_e32 v83, 1, v83
	v_fma_f64 v[197:198], v[100:101], s[16:17], v[153:154]
	v_add_u32_e32 v79, v83, v79
	v_add_f64 v[161:162], v[183:184], v[161:162]
	v_fma_f64 v[183:184], v[58:59], s[50:51], v[191:192]
	v_lshrrev_b32_e32 v79, 2, v79
	v_mul_lo_u32 v79, v79, 7
	v_mul_f64 v[207:208], v[114:115], s[44:45]
	v_add_f64 v[171:172], v[203:204], v[171:172]
	v_add_f64 v[151:152], v[197:198], v[151:152]
	v_fma_f64 v[197:198], v[94:95], s[56:57], v[199:200]
	v_add_f64 v[155:156], v[187:188], v[155:156]
	v_add_f64 v[161:162], v[183:184], v[161:162]
	v_fma_f64 v[183:184], v[66:67], s[20:21], v[201:202]
	v_fma_f64 v[187:188], v[104:105], s[20:21], v[205:206]
	v_mul_f64 v[203:204], v[112:113], s[36:37]
	v_sub_u32_e32 v68, v68, v79
	v_mul_u32_u24_e32 v68, 0x242, v68
	v_add_f64 v[151:152], v[197:198], v[151:152]
	v_lshlrev_b32_e32 v150, 3, v68
	s_movk_i32 s0, 0x88
	v_add_u32_e32 v0, 0, v150
	v_mad_u32_u24 v68, v80, s0, v0
	ds_write2_b64 v68, v[132:133], v[2:3] offset1:1
	v_add_f64 v[1:2], v[183:184], v[161:162]
	v_fma_f64 v[132:133], v[104:105], s[58:59], v[207:208]
	v_mul_f64 v[161:162], v[122:123], s[10:11]
	v_mul_f64 v[183:184], v[122:123], s[4:5]
	v_add_f64 v[155:156], v[187:188], v[155:156]
	v_fma_f64 v[187:188], v[102:103], s[56:57], v[203:204]
	ds_write2_b64 v68, v[171:172], v[151:152] offset0:2 offset1:3
	v_mul_f64 v[151:152], v[112:113], s[6:7]
	v_mul_f64 v[171:172], v[110:111], s[18:19]
	v_add_f64 v[1:2], v[132:133], v[1:2]
	v_fma_f64 v[132:133], v[50:51], s[24:25], v[161:162]
	v_fma_f64 v[197:198], v[50:51], s[54:55], v[183:184]
	v_mul_f64 v[209:210], v[118:119], s[26:27]
	v_add_f64 v[155:156], v[187:188], v[155:156]
	v_mul_f64 v[187:188], v[118:119], s[6:7]
	v_fma_f64 v[211:212], v[102:103], s[40:41], v[151:152]
	v_fma_f64 v[213:214], v[100:101], s[30:31], v[171:172]
	v_mul_f64 v[215:216], v[110:111], s[26:27]
	v_add_f64 v[132:133], v[132:133], v[139:140]
	v_add_f64 v[139:140], v[197:198], v[143:144]
	v_fma_f64 v[143:144], v[58:59], s[34:35], v[209:210]
	v_mul_f64 v[197:198], v[116:117], s[36:37]
	v_fma_f64 v[217:218], v[58:59], s[16:17], v[187:188]
	v_add_f64 v[1:2], v[211:212], v[1:2]
	v_mul_f64 v[211:212], v[116:117], s[18:19]
	v_fma_f64 v[219:220], v[100:101], s[34:35], v[215:216]
	v_add_f64 v[155:156], v[213:214], v[155:156]
	v_mul_f64 v[213:214], v[108:109], s[22:23]
	v_add_f64 v[132:133], v[143:144], v[132:133]
	v_fma_f64 v[143:144], v[66:67], s[56:57], v[197:198]
	v_add_f64 v[139:140], v[217:218], v[139:140]
	v_mul_f64 v[217:218], v[114:115], s[6:7]
	v_fma_f64 v[221:222], v[66:67], s[30:31], v[211:212]
	v_add_f64 v[1:2], v[219:220], v[1:2]
	v_mul_f64 v[219:220], v[114:115], s[26:27]
	v_fma_f64 v[223:224], v[94:95], s[50:51], v[213:214]
	v_mul_f64 v[122:123], v[122:123], s[26:27]
	v_add_f64 v[132:133], v[143:144], v[132:133]
	v_mul_f64 v[118:119], v[118:119], s[36:37]
	v_fma_f64 v[143:144], v[104:105], s[40:41], v[217:218]
	v_add_f64 v[139:140], v[221:222], v[139:140]
	v_mul_f64 v[221:222], v[112:113], s[22:23]
	v_fma_f64 v[227:228], v[104:105], s[34:35], v[219:220]
	;; [unrolled: 3-line block ×3, first 2 shown]
	v_fma_f64 v[122:123], v[50:51], s[34:35], v[122:123]
	v_add_f64 v[132:133], v[143:144], v[132:133]
	v_mul_f64 v[116:117], v[116:117], s[22:23]
	v_fma_f64 v[143:144], v[102:103], s[28:29], v[221:222]
	v_add_f64 v[139:140], v[227:228], v[139:140]
	v_mul_f64 v[227:228], v[110:111], s[44:45]
	v_fma_f64 v[233:234], v[102:103], s[58:59], v[223:224]
	v_add_f64 v[134:135], v[231:232], v[134:135]
	v_fma_f64 v[231:232], v[58:59], s[56:57], v[118:119]
	v_mul_f64 v[235:236], v[110:111], s[22:23]
	v_add_f64 v[122:123], v[122:123], v[136:137]
	v_add_f64 v[132:133], v[143:144], v[132:133]
	v_fma_f64 v[118:119], v[58:59], s[42:43], v[118:119]
	v_fma_f64 v[143:144], v[100:101], s[58:59], v[227:228]
	v_add_f64 v[139:140], v[233:234], v[139:140]
	v_mul_f64 v[233:234], v[108:109], s[4:5]
	v_add_f64 v[134:135], v[231:232], v[134:135]
	v_fma_f64 v[136:137], v[66:67], s[50:51], v[116:117]
	v_mul_f64 v[114:115], v[114:115], s[18:19]
	v_fma_f64 v[161:162], v[50:51], s[52:53], v[161:162]
	v_fma_f64 v[237:238], v[100:101], s[50:51], v[235:236]
	v_add_f64 v[132:133], v[143:144], v[132:133]
	v_add_f64 v[118:119], v[118:119], v[122:123]
	v_fma_f64 v[143:144], v[94:95], s[54:55], v[233:234]
	v_fma_f64 v[116:117], v[66:67], s[28:29], v[116:117]
	v_add_f64 v[122:123], v[136:137], v[134:135]
	v_fma_f64 v[134:135], v[104:105], s[46:47], v[114:115]
	v_mul_f64 v[112:113], v[112:113], s[4:5]
	v_mul_f64 v[136:137], v[108:109], s[10:11]
	v_add_f64 v[141:142], v[161:162], v[141:142]
	v_fma_f64 v[161:162], v[58:59], s[38:39], v[209:210]
	v_add_f64 v[132:133], v[143:144], v[132:133]
	v_fma_f64 v[143:144], v[50:51], s[20:21], v[183:184]
	v_add_f64 v[139:140], v[237:238], v[139:140]
	v_add_f64 v[116:117], v[116:117], v[118:119]
	;; [unrolled: 1-line block ×3, first 2 shown]
	v_fma_f64 v[114:115], v[104:105], s[30:31], v[114:115]
	v_fma_f64 v[122:123], v[102:103], s[54:55], v[112:113]
	;; [unrolled: 1-line block ×3, first 2 shown]
	v_mul_f64 v[110:111], v[110:111], s[10:11]
	v_add_f64 v[143:144], v[143:144], v[147:148]
	v_add_f64 v[141:142], v[161:162], v[141:142]
	v_fma_f64 v[147:148], v[58:59], s[40:41], v[187:188]
	v_fma_f64 v[161:162], v[66:67], s[42:43], v[197:198]
	v_add_f64 v[114:115], v[114:115], v[116:117]
	v_add_f64 v[116:117], v[122:123], v[118:119]
	v_fma_f64 v[112:113], v[102:103], s[20:21], v[112:113]
	v_fma_f64 v[118:119], v[100:101], s[52:53], v[110:111]
	;; [unrolled: 1-line block ×3, first 2 shown]
	v_add_f64 v[134:135], v[134:135], v[139:140]
	v_add_f64 v[139:140], v[147:148], v[143:144]
	;; [unrolled: 1-line block ×3, first 2 shown]
	v_fma_f64 v[143:144], v[66:67], s[46:47], v[211:212]
	v_fma_f64 v[147:148], v[104:105], s[16:17], v[217:218]
	v_add_f64 v[112:113], v[112:113], v[114:115]
	v_add_f64 v[114:115], v[118:119], v[116:117]
	;; [unrolled: 1-line block ×3, first 2 shown]
	v_fma_f64 v[118:119], v[50:51], s[56:57], v[185:186]
	v_fma_f64 v[122:123], v[58:59], s[52:53], v[189:190]
	;; [unrolled: 1-line block ×3, first 2 shown]
	v_add_f64 v[126:127], v[143:144], v[139:140]
	v_add_f64 v[139:140], v[147:148], v[141:142]
	v_fma_f64 v[141:142], v[104:105], s[38:39], v[219:220]
	v_fma_f64 v[143:144], v[102:103], s[50:51], v[221:222]
	v_mul_f64 v[225:226], v[108:109], s[18:19]
	v_mul_f64 v[108:109], v[108:109], s[6:7]
	v_add_f64 v[118:119], v[118:119], v[124:125]
	v_add_f64 v[116:117], v[122:123], v[116:117]
	v_fma_f64 v[122:123], v[58:59], s[28:29], v[191:192]
	v_fma_f64 v[124:125], v[66:67], s[34:35], v[195:196]
	v_add_f64 v[110:111], v[110:111], v[112:113]
	v_add_f64 v[112:113], v[141:142], v[126:127]
	;; [unrolled: 1-line block ×3, first 2 shown]
	v_fma_f64 v[139:140], v[102:103], s[48:49], v[223:224]
	v_fma_f64 v[141:142], v[100:101], s[48:49], v[227:228]
	v_fma_f64 v[143:144], v[94:95], s[40:41], v[108:109]
	v_add_f64 v[118:119], v[122:123], v[118:119]
	v_add_f64 v[116:117], v[124:125], v[116:117]
	v_fma_f64 v[122:123], v[66:67], s[54:55], v[201:202]
	v_fma_f64 v[124:125], v[104:105], s[54:55], v[205:206]
	v_fma_f64 v[108:109], v[94:95], s[16:17], v[108:109]
	v_add_f64 v[112:113], v[139:140], v[112:113]
	v_add_f64 v[126:127], v[141:142], v[126:127]
	;; [unrolled: 5-line block ×3, first 2 shown]
	v_fma_f64 v[122:123], v[104:105], s[48:49], v[207:208]
	v_fma_f64 v[124:125], v[102:103], s[42:43], v[203:204]
	v_add_f64 v[108:109], v[108:109], v[110:111]
	v_add_f64 v[110:111], v[139:140], v[112:113]
	;; [unrolled: 1-line block ×3, first 2 shown]
	v_fma_f64 v[126:127], v[94:95], s[24:25], v[136:137]
	v_fma_f64 v[136:137], v[50:51], s[40:41], v[145:146]
	;; [unrolled: 1-line block ×3, first 2 shown]
	v_add_f64 v[118:119], v[122:123], v[118:119]
	v_add_f64 v[116:117], v[124:125], v[116:117]
	v_fma_f64 v[122:123], v[102:103], s[16:17], v[151:152]
	v_fma_f64 v[50:51], v[50:51], s[50:51], v[52:53]
	v_mul_f64 v[52:53], v[48:49], s[50:51]
	v_fma_f64 v[124:125], v[100:101], s[46:47], v[171:172]
	v_add_f64 v[54:55], v[136:137], v[54:55]
	v_add_f64 v[120:121], v[139:140], v[120:121]
	v_fma_f64 v[136:137], v[58:59], s[30:31], v[165:166]
	v_fma_f64 v[139:140], v[58:59], s[58:59], v[167:168]
	v_add_f64 v[118:119], v[122:123], v[118:119]
	v_add_f64 v[44:45], v[50:51], v[44:45]
	v_fma_f64 v[50:51], v[56:57], s[22:23], v[52:53]
	v_mul_f64 v[58:59], v[62:63], s[54:55]
	v_add_f64 v[116:117], v[124:125], v[116:117]
	v_fma_f64 v[122:123], v[66:67], s[48:49], v[169:170]
	v_add_f64 v[54:55], v[136:137], v[54:55]
	v_add_f64 v[120:121], v[139:140], v[120:121]
	v_fma_f64 v[124:125], v[66:67], s[52:53], v[159:160]
	v_add_f64 v[44:45], v[46:47], v[44:45]
	v_add_f64 v[8:9], v[50:51], v[8:9]
	v_fma_f64 v[46:47], v[60:61], s[4:5], v[58:59]
	v_fma_f64 v[14:15], v[66:67], s[40:41], v[14:15]
	v_mul_f64 v[66:67], v[64:65], s[40:41]
	v_fma_f64 v[50:51], v[100:101], s[38:39], v[215:216]
	v_add_f64 v[54:55], v[122:123], v[54:55]
	v_add_f64 v[120:121], v[124:125], v[120:121]
	v_fma_f64 v[122:123], v[104:105], s[56:57], v[173:174]
	v_fma_f64 v[124:125], v[104:105], s[28:29], v[177:178]
	v_add_f64 v[8:9], v[46:47], v[8:9]
	v_add_f64 v[14:15], v[14:15], v[44:45]
	v_fma_f64 v[44:45], v[96:97], s[6:7], v[66:67]
	v_fma_f64 v[12:13], v[104:105], s[24:25], v[12:13]
	v_mul_f64 v[136:137], v[106:107], s[24:25]
	v_add_f64 v[104:105], v[50:51], v[118:119]
	v_add_f64 v[46:47], v[122:123], v[54:55]
	;; [unrolled: 1-line block ×3, first 2 shown]
	v_fma_f64 v[118:119], v[102:103], s[52:53], v[179:180]
	v_fma_f64 v[120:121], v[102:103], s[38:39], v[157:158]
	v_add_f64 v[8:9], v[44:45], v[8:9]
	v_add_f64 v[12:13], v[12:13], v[14:15]
	v_fma_f64 v[14:15], v[77:78], s[10:11], v[136:137]
	v_fma_f64 v[10:11], v[102:103], s[30:31], v[10:11]
	;; [unrolled: 1-line block ×4, first 2 shown]
	v_add_f64 v[44:45], v[118:119], v[46:47]
	v_add_f64 v[54:55], v[120:121], v[54:55]
	v_fma_f64 v[118:119], v[100:101], s[20:21], v[175:176]
	v_fma_f64 v[120:121], v[100:101], s[40:41], v[153:154]
	v_add_f64 v[8:9], v[14:15], v[8:9]
	v_fma_f64 v[14:15], v[100:101], s[42:43], v[130:131]
	v_fma_f64 v[100:101], v[94:95], s[30:31], v[225:226]
	v_add_f64 v[10:11], v[10:11], v[12:13]
	v_fma_f64 v[122:123], v[94:95], s[42:43], v[199:200]
	v_add_f64 v[1:2], v[229:230], v[1:2]
	v_add_f64 v[118:119], v[118:119], v[44:45]
	v_add_f64 v[54:55], v[120:121], v[54:55]
	v_fma_f64 v[120:121], v[94:95], s[34:35], v[193:194]
	v_add_f64 v[114:115], v[143:144], v[114:115]
	v_add_f64 v[100:101], v[100:101], v[104:105]
	;; [unrolled: 4-line block ×3, first 2 shown]
	v_add_f64 v[54:55], v[122:123], v[54:55]
	v_add_f64 v[104:105], v[120:121], v[118:119]
	v_mul_f64 v[118:119], v[48:49], s[40:41]
	v_mul_f64 v[120:121], v[48:49], s[30:31]
	ds_write2_b64 v68, v[155:156], v[1:2] offset0:4 offset1:5
	ds_write2_b64 v68, v[132:133], v[134:135] offset0:6 offset1:7
	;; [unrolled: 1-line block ×6, first 2 shown]
	v_lshlrev_b32_e32 v1, 3, v80
	v_mul_f64 v[50:51], v[98:99], s[30:31]
	v_add_u32_e32 v139, v0, v1
	v_lshl_add_u32 v141, v91, 3, v0
	v_lshl_add_u32 v142, v85, 3, v0
	;; [unrolled: 1-line block ×8, first 2 shown]
	v_add3_u32 v145, 0, v1, v150
	v_fma_f64 v[0:1], v[56:57], s[6:7], v[118:119]
	v_fma_f64 v[2:3], v[56:57], s[18:19], v[120:121]
	v_mul_f64 v[122:123], v[62:63], s[30:31]
	v_mul_f64 v[124:125], v[62:63], s[58:59]
	v_fma_f64 v[12:13], v[73:74], s[18:19], v[50:51]
	v_mul_f64 v[46:47], v[92:93], s[42:43]
	v_mul_f64 v[126:127], v[64:65], s[48:49]
	;; [unrolled: 1-line block ×3, first 2 shown]
	v_add_f64 v[0:1], v[0:1], v[4:5]
	v_add_f64 v[2:3], v[2:3], v[6:7]
	v_fma_f64 v[4:5], v[60:61], s[18:19], v[122:123]
	v_fma_f64 v[6:7], v[60:61], s[44:45], v[124:125]
	v_add_f64 v[8:9], v[12:13], v[8:9]
	v_fma_f64 v[12:13], v[71:72], s[36:37], v[46:47]
	v_mul_f64 v[44:45], v[75:76], s[48:49]
	v_fma_f64 v[130:131], v[96:97], s[44:45], v[126:127]
	v_mul_f64 v[132:133], v[106:107], s[56:57]
	v_fma_f64 v[134:135], v[96:97], s[10:11], v[128:129]
	v_add_f64 v[4:5], v[4:5], v[0:1]
	v_add_f64 v[6:7], v[6:7], v[2:3]
	v_mul_f64 v[151:152], v[106:107], s[28:29]
	v_add_f64 v[8:9], v[12:13], v[8:9]
	v_fma_f64 v[12:13], v[69:70], s[44:45], v[44:45]
	v_mul_f64 v[155:156], v[98:99], s[52:53]
	v_fma_f64 v[153:154], v[77:78], s[36:37], v[132:133]
	v_mul_f64 v[159:160], v[98:99], s[38:39]
	v_add_f64 v[130:131], v[130:131], v[4:5]
	v_add_f64 v[134:135], v[134:135], v[6:7]
	v_fma_f64 v[157:158], v[77:78], s[22:23], v[151:152]
	v_add_f64 v[10:11], v[14:15], v[10:11]
	v_add_f64 v[54:55], v[12:13], v[8:9]
	v_mul_f64 v[163:164], v[48:49], s[56:57]
	v_add_u32_e32 v149, 0x800, v145
	v_add_u32_e32 v148, 0xc00, v145
	v_add_f64 v[130:131], v[153:154], v[130:131]
	v_fma_f64 v[153:154], v[73:74], s[10:11], v[155:156]
	v_add_f64 v[134:135], v[157:158], v[134:135]
	v_fma_f64 v[157:158], v[73:74], s[26:27], v[159:160]
	ds_write_b64 v68, v[10:11] offset:128
	s_waitcnt lgkmcnt(0)
	s_barrier
	ds_read_b64 v[94:95], v139
	ds_read_b64 v[116:117], v141
	;; [unrolled: 1-line block ×9, first 2 shown]
	ds_read2_b64 v[12:15], v149 offset0:50 offset1:84
	ds_read2_b64 v[0:3], v149 offset0:118 offset1:152
	;; [unrolled: 1-line block ×4, first 2 shown]
	s_waitcnt lgkmcnt(0)
	s_barrier
	ds_write2_b64 v68, v[28:29], v[54:55] offset1:1
	v_add_f64 v[28:29], v[153:154], v[130:131]
	v_add_f64 v[134:135], v[157:158], v[134:135]
	v_fma_f64 v[153:154], v[56:57], s[36:37], v[163:164]
	v_mul_f64 v[157:158], v[62:63], s[28:29]
	v_mul_f64 v[161:162], v[48:49], s[48:49]
	;; [unrolled: 1-line block ×7, first 2 shown]
	v_add_f64 v[36:37], v[153:154], v[36:37]
	v_fma_f64 v[153:154], v[60:61], s[22:23], v[157:158]
	v_mul_f64 v[130:131], v[62:63], s[52:53]
	v_mul_f64 v[181:182], v[106:107], s[48:49]
	;; [unrolled: 1-line block ×4, first 2 shown]
	v_fma_f64 v[217:218], v[56:57], s[26:27], v[48:49]
	v_fma_f64 v[48:49], v[56:57], s[26:27], -v[48:49]
	v_mul_f64 v[62:63], v[62:63], s[42:43]
	v_add_f64 v[36:37], v[153:154], v[36:37]
	v_fma_f64 v[153:154], v[96:97], s[4:5], v[175:176]
	v_fma_f64 v[167:168], v[71:72], s[4:5], v[165:166]
	v_mul_f64 v[171:172], v[75:76], s[34:35]
	v_fma_f64 v[54:55], v[56:57], s[44:45], v[161:162]
	v_mul_f64 v[169:170], v[92:93], s[40:41]
	v_mul_f64 v[173:174], v[64:65], s[34:35]
	;; [unrolled: 1-line block ×4, first 2 shown]
	v_add_f64 v[36:37], v[153:154], v[36:37]
	v_fma_f64 v[153:154], v[77:78], s[44:45], v[181:182]
	v_mul_f64 v[205:206], v[64:65], s[46:47]
	v_add_f64 v[38:39], v[217:218], v[38:39]
	v_add_f64 v[40:41], v[48:49], v[40:41]
	v_fma_f64 v[48:49], v[60:61], s[36:37], v[62:63]
	v_fma_f64 v[62:63], v[60:61], s[36:37], -v[62:63]
	v_mul_f64 v[64:65], v[64:65], s[28:29]
	v_add_f64 v[28:29], v[167:168], v[28:29]
	v_fma_f64 v[177:178], v[69:70], s[26:27], v[171:172]
	v_add_f64 v[34:35], v[54:55], v[34:35]
	v_fma_f64 v[54:55], v[60:61], s[10:11], v[130:131]
	v_fma_f64 v[167:168], v[71:72], s[6:7], v[169:170]
	v_add_f64 v[36:37], v[153:154], v[36:37]
	v_fma_f64 v[199:200], v[73:74], s[6:7], v[191:192]
	v_mul_f64 v[203:204], v[92:93], s[38:39]
	v_add_f64 v[38:39], v[48:49], v[38:39]
	v_add_f64 v[40:41], v[62:63], v[40:41]
	v_fma_f64 v[48:49], v[96:97], s[22:23], v[64:65]
	v_fma_f64 v[62:63], v[96:97], s[22:23], -v[64:65]
	v_mul_f64 v[64:65], v[106:107], s[30:31]
	v_add_f64 v[28:29], v[177:178], v[28:29]
	v_fma_f64 v[177:178], v[56:57], s[10:11], v[183:184]
	v_add_f64 v[34:35], v[54:55], v[34:35]
	v_fma_f64 v[54:55], v[96:97], s[26:27], v[173:174]
	v_mul_f64 v[179:180], v[106:107], s[54:55]
	v_add_f64 v[134:135], v[167:168], v[134:135]
	v_mul_f64 v[167:168], v[75:76], s[42:43]
	v_add_f64 v[36:37], v[199:200], v[36:37]
	v_fma_f64 v[199:200], v[71:72], s[26:27], v[203:204]
	v_mul_f64 v[215:216], v[75:76], s[30:31]
	v_add_f64 v[38:39], v[48:49], v[38:39]
	v_add_f64 v[40:41], v[62:63], v[40:41]
	v_fma_f64 v[48:49], v[77:78], s[18:19], v[64:65]
	v_fma_f64 v[62:63], v[77:78], s[18:19], -v[64:65]
	v_mul_f64 v[64:65], v[98:99], s[20:21]
	v_add_f64 v[30:31], v[177:178], v[30:31]
	v_fma_f64 v[177:178], v[60:61], s[26:27], v[187:188]
	v_add_f64 v[34:35], v[54:55], v[34:35]
	v_fma_f64 v[54:55], v[77:78], s[4:5], v[179:180]
	v_fma_f64 v[189:190], v[69:70], s[36:37], v[167:168]
	v_mul_f64 v[207:208], v[106:107], s[16:17]
	v_mul_f64 v[209:210], v[106:107], s[38:39]
	v_add_f64 v[36:37], v[199:200], v[36:37]
	v_fma_f64 v[106:107], v[69:70], s[18:19], v[215:216]
	v_add_f64 v[38:39], v[48:49], v[38:39]
	v_fma_f64 v[48:49], v[73:74], s[4:5], v[64:65]
	;; [unrolled: 2-line block ×3, first 2 shown]
	v_fma_f64 v[153:154], v[56:57], s[4:5], v[185:186]
	v_add_f64 v[34:35], v[54:55], v[34:35]
	v_mul_f64 v[54:55], v[98:99], s[42:43]
	v_mul_f64 v[211:212], v[98:99], s[50:51]
	;; [unrolled: 1-line block ×3, first 2 shown]
	v_add_f64 v[98:99], v[189:190], v[134:135]
	v_add_f64 v[36:37], v[106:107], v[36:37]
	;; [unrolled: 1-line block ×3, first 2 shown]
	v_fma_f64 v[52:53], v[56:57], s[22:23], -v[52:53]
	v_fma_f64 v[62:63], v[56:57], s[6:7], -v[118:119]
	;; [unrolled: 1-line block ×7, first 2 shown]
	v_add_f64 v[38:39], v[48:49], v[38:39]
	v_fma_f64 v[48:49], v[73:74], s[4:5], -v[64:65]
	v_add_f64 v[30:31], v[177:178], v[30:31]
	v_fma_f64 v[177:178], v[77:78], s[6:7], v[207:208]
	v_add_f64 v[42:43], v[153:154], v[42:43]
	v_fma_f64 v[153:154], v[60:61], s[6:7], v[193:194]
	v_add_f64 v[16:17], v[52:53], v[16:17]
	v_add_f64 v[18:19], v[62:63], v[18:19]
	;; [unrolled: 1-line block ×3, first 2 shown]
	v_fma_f64 v[52:53], v[60:61], s[4:5], -v[58:59]
	v_fma_f64 v[56:57], v[60:61], s[18:19], -v[122:123]
	v_add_f64 v[40:41], v[48:49], v[40:41]
	v_mul_f64 v[48:49], v[92:93], s[24:25]
	v_add_f64 v[30:31], v[177:178], v[30:31]
	v_fma_f64 v[177:178], v[73:74], s[22:23], v[211:212]
	v_add_f64 v[20:21], v[106:107], v[20:21]
	v_add_f64 v[22:23], v[118:119], v[22:23]
	;; [unrolled: 1-line block ×4, first 2 shown]
	v_fma_f64 v[58:59], v[60:61], s[44:45], -v[124:125]
	v_fma_f64 v[62:63], v[60:61], s[10:11], -v[130:131]
	v_fma_f64 v[64:65], v[60:61], s[22:23], -v[157:158]
	v_fma_f64 v[106:107], v[60:61], s[26:27], -v[187:188]
	v_fma_f64 v[60:61], v[60:61], s[6:7], -v[193:194]
	v_add_f64 v[42:43], v[153:154], v[42:43]
	v_fma_f64 v[153:154], v[96:97], s[18:19], v[205:206]
	v_add_f64 v[16:17], v[52:53], v[16:17]
	v_add_f64 v[18:19], v[56:57], v[18:19]
	v_fma_f64 v[52:53], v[71:72], s[10:11], v[48:49]
	v_fma_f64 v[56:57], v[96:97], s[6:7], -v[66:67]
	v_mul_f64 v[201:202], v[92:93], s[46:47]
	v_add_f64 v[30:31], v[177:178], v[30:31]
	v_mul_f64 v[177:178], v[92:93], s[48:49]
	v_mul_f64 v[219:220], v[92:93], s[28:29]
	v_add_f64 v[20:21], v[58:59], v[20:21]
	v_add_f64 v[22:23], v[62:63], v[22:23]
	;; [unrolled: 1-line block ×5, first 2 shown]
	v_fma_f64 v[58:59], v[96:97], s[44:45], -v[126:127]
	v_fma_f64 v[60:61], v[96:97], s[10:11], -v[128:129]
	;; [unrolled: 1-line block ×7, first 2 shown]
	v_fma_f64 v[197:198], v[73:74], s[36:37], v[54:55]
	v_add_f64 v[42:43], v[153:154], v[42:43]
	v_fma_f64 v[153:154], v[77:78], s[26:27], v[209:210]
	v_add_f64 v[38:39], v[52:53], v[38:39]
	v_add_f64 v[16:17], v[56:57], v[16:17]
	v_fma_f64 v[52:53], v[77:78], s[10:11], -v[136:137]
	v_add_f64 v[18:19], v[58:59], v[18:19]
	v_add_f64 v[20:21], v[60:61], v[20:21]
	;; [unrolled: 1-line block ×6, first 2 shown]
	v_fma_f64 v[58:59], v[77:78], s[22:23], -v[151:152]
	v_fma_f64 v[60:61], v[77:78], s[4:5], -v[179:180]
	;; [unrolled: 1-line block ×5, first 2 shown]
	v_add_f64 v[40:41], v[48:49], v[40:41]
	v_mul_f64 v[48:49], v[75:76], s[16:17]
	v_fma_f64 v[56:57], v[77:78], s[36:37], -v[132:133]
	v_add_f64 v[34:35], v[197:198], v[34:35]
	v_fma_f64 v[197:198], v[71:72], s[18:19], v[201:202]
	v_add_f64 v[42:43], v[153:154], v[42:43]
	v_fma_f64 v[153:154], v[73:74], s[44:45], v[199:200]
	v_add_f64 v[16:17], v[52:53], v[16:17]
	v_fma_f64 v[50:51], v[73:74], s[18:19], -v[50:51]
	v_add_f64 v[20:21], v[58:59], v[20:21]
	v_add_f64 v[22:23], v[60:61], v[22:23]
	;; [unrolled: 1-line block ×5, first 2 shown]
	v_fma_f64 v[52:53], v[69:70], s[6:7], v[48:49]
	v_fma_f64 v[58:59], v[73:74], s[26:27], -v[159:160]
	v_fma_f64 v[54:55], v[73:74], s[36:37], -v[54:55]
	;; [unrolled: 1-line block ×5, first 2 shown]
	v_add_f64 v[18:19], v[56:57], v[18:19]
	v_fma_f64 v[56:57], v[73:74], s[10:11], -v[155:156]
	v_add_f64 v[34:35], v[197:198], v[34:35]
	v_mul_f64 v[197:198], v[75:76], s[28:29]
	v_add_f64 v[42:43], v[153:154], v[42:43]
	v_fma_f64 v[153:154], v[71:72], s[44:45], v[177:178]
	v_fma_f64 v[217:218], v[71:72], s[22:23], v[219:220]
	v_mul_f64 v[221:222], v[75:76], s[20:21]
	v_mul_f64 v[223:224], v[75:76], s[24:25]
	v_add_f64 v[16:17], v[50:51], v[16:17]
	v_fma_f64 v[46:47], v[71:72], s[36:37], -v[46:47]
	v_add_f64 v[38:39], v[52:53], v[38:39]
	v_add_f64 v[20:21], v[58:59], v[20:21]
	;; [unrolled: 1-line block ×5, first 2 shown]
	v_fma_f64 v[52:53], v[71:72], s[6:7], -v[169:170]
	v_fma_f64 v[54:55], v[71:72], s[18:19], -v[201:202]
	v_add_f64 v[32:33], v[64:65], v[32:33]
	v_fma_f64 v[58:59], v[71:72], s[44:45], -v[177:178]
	v_fma_f64 v[60:61], v[71:72], s[22:23], -v[219:220]
	v_add_f64 v[18:19], v[56:57], v[18:19]
	v_fma_f64 v[50:51], v[71:72], s[4:5], -v[165:166]
	v_fma_f64 v[56:57], v[71:72], s[26:27], -v[203:204]
	v_fma_f64 v[213:214], v[69:70], s[22:23], v[197:198]
	v_add_f64 v[30:31], v[153:154], v[30:31]
	v_add_f64 v[42:43], v[217:218], v[42:43]
	v_fma_f64 v[153:154], v[69:70], s[4:5], v[221:222]
	v_fma_f64 v[217:218], v[69:70], s[10:11], v[223:224]
	v_add_f64 v[16:17], v[46:47], v[16:17]
	v_fma_f64 v[46:47], v[69:70], s[6:7], -v[48:49]
	v_add_f64 v[20:21], v[52:53], v[20:21]
	v_add_f64 v[22:23], v[54:55], v[22:23]
	;; [unrolled: 1-line block ×4, first 2 shown]
	v_fma_f64 v[52:53], v[69:70], s[4:5], -v[221:222]
	v_fma_f64 v[54:55], v[69:70], s[10:11], -v[223:224]
	v_add_f64 v[18:19], v[50:51], v[18:19]
	v_add_f64 v[24:25], v[56:57], v[24:25]
	v_fma_f64 v[50:51], v[69:70], s[22:23], -v[197:198]
	v_fma_f64 v[56:57], v[69:70], s[18:19], -v[215:216]
	;; [unrolled: 1-line block ×5, first 2 shown]
	v_add_f64 v[34:35], v[213:214], v[34:35]
	v_add_f64 v[30:31], v[153:154], v[30:31]
	;; [unrolled: 1-line block ×10, first 2 shown]
	v_subrev_u32_e32 v93, 17, v80
	v_cmp_gt_u32_e64 s[0:1], 17, v80
	v_add_f64 v[16:17], v[44:45], v[16:17]
	v_cndmask_b32_e64 v92, v93, v80, s[0:1]
	ds_write2_b64 v68, v[28:29], v[98:99] offset0:2 offset1:3
	ds_write2_b64 v68, v[34:35], v[36:37] offset0:4 offset1:5
	;; [unrolled: 1-line block ×7, first 2 shown]
	ds_write_b64 v68, v[16:17] offset:128
	v_lshlrev_b32_e32 v16, 4, v92
	v_mov_b32_e32 v17, 0
	v_lshlrev_b64 v[16:17], 4, v[16:17]
	v_mov_b32_e32 v18, s9
	v_add_co_u32_e64 v60, s[2:3], s8, v16
	v_addc_co_u32_e64 v61, s[2:3], v18, v17, s[2:3]
	s_waitcnt lgkmcnt(0)
	s_barrier
	global_load_dwordx4 v[16:19], v[60:61], off offset:128
	global_load_dwordx4 v[20:23], v[60:61], off offset:144
	;; [unrolled: 1-line block ×6, first 2 shown]
	global_load_dwordx4 v[40:43], v[60:61], off
	global_load_dwordx4 v[28:31], v[60:61], off offset:224
	global_load_dwordx4 v[36:39], v[60:61], off offset:240
	;; [unrolled: 1-line block ×8, first 2 shown]
	ds_read2_b64 v[48:51], v149 offset0:50 offset1:84
	global_load_dwordx4 v[60:63], v[60:61], off offset:112
	ds_read2_b64 v[76:79], v149 offset0:118 offset1:152
	ds_read2_b64 v[126:129], v149 offset0:186 offset1:220
	v_mov_b32_e32 v83, 0x908
	v_cmp_lt_u32_e64 s[2:3], 16, v80
	v_cndmask_b32_e64 v83, 0, v83, s[2:3]
	v_add_u32_e32 v83, 0, v83
	s_waitcnt vmcnt(15) lgkmcnt(2)
	v_mul_f64 v[96:97], v[48:49], v[18:19]
	s_waitcnt vmcnt(14)
	v_mul_f64 v[98:99], v[50:51], v[22:23]
	v_mul_f64 v[134:135], v[12:13], v[18:19]
	;; [unrolled: 1-line block ×3, first 2 shown]
	s_waitcnt vmcnt(13)
	v_mul_f64 v[106:107], v[2:3], v[120:121]
	s_waitcnt vmcnt(11)
	v_mul_f64 v[151:152], v[0:1], v[26:27]
	s_waitcnt vmcnt(10) lgkmcnt(0)
	v_mul_f64 v[130:131], v[128:129], v[34:35]
	v_fma_f64 v[18:19], v[12:13], v[16:17], -v[96:97]
	v_mul_f64 v[96:97], v[78:79], v[120:121]
	v_fma_f64 v[22:23], v[14:15], v[20:21], -v[98:99]
	v_mul_f64 v[14:15], v[126:127], v[124:125]
	v_mul_f64 v[120:121], v[8:9], v[124:125]
	;; [unrolled: 1-line block ×3, first 2 shown]
	v_fma_f64 v[26:27], v[78:79], v[118:119], v[106:107]
	v_fma_f64 v[106:107], v[10:11], v[32:33], -v[130:131]
	s_waitcnt vmcnt(7)
	v_mul_f64 v[130:131], v[6:7], v[38:39]
	v_fma_f64 v[96:97], v[2:3], v[118:119], -v[96:97]
	v_mul_f64 v[2:3], v[10:11], v[34:35]
	v_fma_f64 v[98:99], v[8:9], v[122:123], -v[14:15]
	v_fma_f64 v[78:79], v[126:127], v[122:123], v[120:121]
	ds_read2_b64 v[124:127], v148 offset0:126 offset1:160
	ds_read_b64 v[8:9], v141
	ds_read_b64 v[10:11], v142
	;; [unrolled: 1-line block ×4, first 2 shown]
	v_mul_f64 v[118:119], v[4:5], v[30:31]
	v_fma_f64 v[16:17], v[48:49], v[16:17], v[134:135]
	s_waitcnt vmcnt(6) lgkmcnt(2)
	v_mul_f64 v[132:133], v[10:11], v[46:47]
	v_mul_f64 v[34:35], v[8:9], v[42:43]
	v_fma_f64 v[120:121], v[128:129], v[32:33], v[2:3]
	v_mul_f64 v[42:43], v[116:117], v[42:43]
	v_mul_f64 v[2:3], v[124:125], v[30:31]
	;; [unrolled: 1-line block ×3, first 2 shown]
	s_waitcnt vmcnt(5) lgkmcnt(1)
	v_mul_f64 v[32:33], v[14:15], v[54:55]
	v_fma_f64 v[118:119], v[124:125], v[28:29], v[118:119]
	v_fma_f64 v[128:129], v[116:117], v[40:41], -v[34:35]
	v_fma_f64 v[116:117], v[126:127], v[36:37], v[130:131]
	v_fma_f64 v[126:127], v[114:115], v[44:45], -v[132:133]
	ds_read_b64 v[34:35], v90
	v_fma_f64 v[130:131], v[8:9], v[40:41], v[42:43]
	v_mul_f64 v[8:9], v[114:115], v[46:47]
	v_fma_f64 v[132:133], v[6:7], v[36:37], -v[30:31]
	v_fma_f64 v[114:115], v[110:111], v[52:53], -v[32:33]
	v_add_f64 v[38:39], v[94:95], v[128:129]
	s_waitcnt vmcnt(4) lgkmcnt(0)
	v_mul_f64 v[153:154], v[34:35], v[74:75]
	ds_read_b64 v[40:41], v140
	ds_read_b64 v[42:43], v146
	;; [unrolled: 1-line block ×3, first 2 shown]
	v_add_f64 v[155:156], v[130:131], -v[116:117]
	v_fma_f64 v[124:125], v[10:11], v[44:45], v[8:9]
	v_mul_f64 v[8:9], v[110:111], v[54:55]
	v_mul_f64 v[10:11], v[112:113], v[74:75]
	v_add_f64 v[6:7], v[38:39], v[126:127]
	v_fma_f64 v[74:75], v[112:113], v[72:73], -v[153:154]
	s_waitcnt vmcnt(3) lgkmcnt(2)
	v_mul_f64 v[30:31], v[40:41], v[70:71]
	v_add_f64 v[153:154], v[128:129], v[132:133]
	v_mul_f64 v[157:158], v[155:156], s[38:39]
	v_fma_f64 v[112:113], v[4:5], v[28:29], -v[2:3]
	v_add_f64 v[159:160], v[124:125], -v[118:119]
	v_fma_f64 v[110:111], v[14:15], v[52:53], v[8:9]
	v_add_f64 v[6:7], v[6:7], v[114:115]
	s_waitcnt vmcnt(2) lgkmcnt(1)
	v_mul_f64 v[2:3], v[42:43], v[66:67]
	v_fma_f64 v[54:55], v[108:109], v[68:69], -v[30:31]
	v_fma_f64 v[72:73], v[34:35], v[72:73], v[10:11]
	v_fma_f64 v[4:5], v[153:154], s[26:27], -v[157:158]
	v_add_f64 v[161:162], v[126:127], v[112:113]
	v_mul_f64 v[163:164], v[159:160], s[50:51]
	v_mul_f64 v[8:9], v[108:109], v[70:71]
	v_add_f64 v[6:7], v[6:7], v[74:75]
	v_add_f64 v[70:71], v[110:111], -v[120:121]
	s_waitcnt vmcnt(1) lgkmcnt(0)
	v_mul_f64 v[10:11], v[46:47], v[58:59]
	v_fma_f64 v[38:39], v[104:105], v[64:65], -v[2:3]
	ds_read_b64 v[2:3], v144
	v_add_f64 v[4:5], v[94:95], v[4:5]
	v_fma_f64 v[14:15], v[161:162], s[22:23], -v[163:164]
	v_add_f64 v[108:109], v[114:115], v[106:107]
	v_add_f64 v[6:7], v[6:7], v[54:55]
	v_mul_f64 v[165:166], v[70:71], s[54:55]
	v_fma_f64 v[30:31], v[102:103], v[56:57], -v[10:11]
	v_add_f64 v[167:168], v[72:73], -v[78:79]
	s_waitcnt vmcnt(0) lgkmcnt(0)
	v_mul_f64 v[10:11], v[2:3], v[62:63]
	v_fma_f64 v[68:69], v[40:41], v[68:69], v[8:9]
	v_mul_f64 v[8:9], v[104:105], v[66:67]
	v_add_f64 v[4:5], v[14:15], v[4:5]
	v_add_f64 v[6:7], v[6:7], v[38:39]
	v_fma_f64 v[14:15], v[108:109], s[4:5], -v[165:166]
	v_add_f64 v[34:35], v[74:75], v[98:99]
	v_mul_f64 v[44:45], v[167:168], s[40:41]
	v_fma_f64 v[28:29], v[100:101], v[60:61], -v[10:11]
	v_add_f64 v[66:67], v[68:69], -v[26:27]
	v_fma_f64 v[40:41], v[76:77], v[24:25], v[151:152]
	v_fma_f64 v[42:43], v[42:43], v[64:65], v[8:9]
	v_add_f64 v[6:7], v[6:7], v[30:31]
	v_mul_f64 v[8:9], v[102:103], v[58:59]
	v_add_f64 v[4:5], v[14:15], v[4:5]
	v_fma_f64 v[10:11], v[34:35], s[6:7], -v[44:45]
	v_add_f64 v[14:15], v[54:55], v[96:97]
	v_mul_f64 v[32:33], v[66:67], s[24:25]
	v_fma_f64 v[52:53], v[0:1], v[24:25], -v[12:13]
	v_add_f64 v[58:59], v[42:43], -v[40:41]
	v_add_f64 v[6:7], v[6:7], v[28:29]
	v_fma_f64 v[24:25], v[50:51], v[20:21], v[136:137]
	v_fma_f64 v[36:37], v[46:47], v[56:57], v[8:9]
	v_mul_f64 v[0:1], v[100:101], v[62:63]
	v_add_f64 v[4:5], v[10:11], v[4:5]
	v_fma_f64 v[8:9], v[14:15], s[10:11], -v[32:33]
	v_add_f64 v[10:11], v[38:39], v[52:53]
	v_mul_f64 v[12:13], v[58:59], s[30:31]
	v_add_f64 v[6:7], v[6:7], v[18:19]
	v_mul_f64 v[56:57], v[155:156], s[50:51]
	v_add_f64 v[46:47], v[36:37], -v[24:25]
	v_fma_f64 v[20:21], v[2:3], v[60:61], v[0:1]
	v_mul_f64 v[76:77], v[159:160], s[40:41]
	v_add_f64 v[2:3], v[8:9], v[4:5]
	v_add_f64 v[4:5], v[30:31], v[22:23]
	v_fma_f64 v[48:49], v[10:11], s[18:19], -v[12:13]
	v_add_f64 v[0:1], v[6:7], v[22:23]
	v_fma_f64 v[62:63], v[153:154], s[22:23], -v[56:57]
	v_mul_f64 v[6:7], v[46:47], s[42:43]
	v_add_f64 v[8:9], v[20:21], -v[16:17]
	v_mul_f64 v[100:101], v[155:156], s[54:55]
	v_fma_f64 v[64:65], v[161:162], s[6:7], -v[76:77]
	v_mul_f64 v[134:135], v[70:71], s[30:31]
	v_add_f64 v[48:49], v[48:49], v[2:3]
	v_add_f64 v[50:51], v[0:1], v[52:53]
	v_add_f64 v[0:1], v[28:29], v[18:19]
	v_fma_f64 v[60:61], v[4:5], s[36:37], -v[6:7]
	v_mul_f64 v[2:3], v[8:9], s[48:49]
	v_add_f64 v[62:63], v[94:95], v[62:63]
	v_fma_f64 v[102:103], v[153:154], s[4:5], -v[100:101]
	v_mul_f64 v[104:105], v[159:160], s[30:31]
	v_fma_f64 v[136:137], v[108:109], s[18:19], -v[134:135]
	v_add_f64 v[50:51], v[50:51], v[96:97]
	v_mul_f64 v[151:152], v[167:168], s[48:49]
	v_add_f64 v[48:49], v[60:61], v[48:49]
	v_fma_f64 v[60:61], v[0:1], s[44:45], -v[2:3]
	v_mul_f64 v[173:174], v[66:67], s[56:57]
	v_mul_f64 v[171:172], v[167:168], s[52:53]
	;; [unrolled: 1-line block ×4, first 2 shown]
	v_add_f64 v[50:51], v[50:51], v[98:99]
	v_mul_f64 v[175:176], v[66:67], s[28:29]
	v_mul_f64 v[183:184], v[155:156], s[24:25]
	v_add_f64 v[48:49], v[60:61], v[48:49]
	v_add_f64 v[60:61], v[64:65], v[62:63]
	;; [unrolled: 1-line block ×3, first 2 shown]
	v_fma_f64 v[64:65], v[161:162], s[18:19], -v[104:105]
	v_mul_f64 v[102:103], v[70:71], s[58:59]
	v_add_f64 v[50:51], v[50:51], v[106:107]
	v_fma_f64 v[185:186], v[153:154], s[6:7], -v[179:180]
	v_mul_f64 v[187:188], v[159:160], s[48:49]
	v_add_f64 v[60:61], v[136:137], v[60:61]
	v_fma_f64 v[136:137], v[34:35], s[44:45], -v[151:152]
	v_add_f64 v[62:63], v[64:65], v[62:63]
	v_fma_f64 v[169:170], v[108:109], s[44:45], -v[102:103]
	v_add_f64 v[50:51], v[50:51], v[112:113]
	v_lshlrev_b32_e32 v64, 3, v92
	v_add3_u32 v64, v83, v64, v150
	s_barrier
	v_mul_f64 v[181:182], v[58:59], s[38:39]
	v_add_f64 v[60:61], v[136:137], v[60:61]
	v_fma_f64 v[136:137], v[14:15], s[36:37], -v[173:174]
	v_add_f64 v[62:63], v[169:170], v[62:63]
	v_add_f64 v[50:51], v[50:51], v[132:133]
	v_fma_f64 v[169:170], v[34:35], s[10:11], -v[171:172]
	v_mul_f64 v[189:190], v[70:71], s[52:53]
	v_mul_f64 v[191:192], v[46:47], s[40:41]
	;; [unrolled: 1-line block ×3, first 2 shown]
	v_add_f64 v[60:61], v[136:137], v[60:61]
	v_fma_f64 v[136:137], v[10:11], s[10:11], -v[177:178]
	ds_write2_b64 v64, v[50:51], v[48:49] offset1:17
	v_add_f64 v[62:63], v[169:170], v[62:63]
	v_fma_f64 v[169:170], v[14:15], s[22:23], -v[175:176]
	v_fma_f64 v[50:51], v[153:154], s[10:11], -v[183:184]
	v_mul_f64 v[197:198], v[167:168], s[34:35]
	v_fma_f64 v[201:202], v[4:5], s[6:7], -v[191:192]
	v_mul_f64 v[205:206], v[167:168], s[54:55]
	v_add_f64 v[48:49], v[136:137], v[60:61]
	v_mul_f64 v[60:61], v[159:160], s[56:57]
	v_add_f64 v[136:137], v[94:95], v[185:186]
	v_fma_f64 v[185:186], v[161:162], s[44:45], -v[187:188]
	v_add_f64 v[62:63], v[169:170], v[62:63]
	v_fma_f64 v[169:170], v[10:11], s[26:27], -v[181:182]
	v_add_f64 v[50:51], v[94:95], v[50:51]
	v_mul_f64 v[207:208], v[66:67], s[54:55]
	v_mul_f64 v[209:210], v[58:59], s[42:43]
	v_fma_f64 v[193:194], v[161:162], s[36:37], -v[60:61]
	v_mul_f64 v[211:212], v[155:156], s[30:31]
	v_add_f64 v[136:137], v[185:186], v[136:137]
	v_fma_f64 v[185:186], v[108:109], s[10:11], -v[189:190]
	v_add_f64 v[62:63], v[169:170], v[62:63]
	v_mul_f64 v[169:170], v[46:47], s[20:21]
	v_mul_f64 v[203:204], v[8:9], s[34:35]
	;; [unrolled: 1-line block ×3, first 2 shown]
	v_add_f64 v[50:51], v[193:194], v[50:51]
	v_fma_f64 v[193:194], v[108:109], s[22:23], -v[195:196]
	v_fma_f64 v[215:216], v[153:154], s[18:19], -v[211:212]
	v_add_f64 v[136:137], v[185:186], v[136:137]
	v_fma_f64 v[185:186], v[34:35], s[26:27], -v[197:198]
	v_add_f64 v[62:63], v[201:202], v[62:63]
	v_mul_f64 v[201:202], v[66:67], s[48:49]
	v_fma_f64 v[199:200], v[4:5], s[4:5], -v[169:170]
	v_mul_f64 v[217:218], v[159:160], s[52:53]
	v_add_f64 v[50:51], v[193:194], v[50:51]
	v_fma_f64 v[193:194], v[34:35], s[4:5], -v[205:206]
	v_mul_f64 v[219:220], v[155:156], s[42:43]
	v_add_f64 v[136:137], v[185:186], v[136:137]
	;; [unrolled: 3-line block ×4, first 2 shown]
	v_fma_f64 v[193:194], v[14:15], s[44:45], -v[201:202]
	v_fma_f64 v[225:226], v[153:154], s[36:37], -v[219:220]
	v_add_f64 v[136:137], v[185:186], v[136:137]
	v_fma_f64 v[185:186], v[10:11], s[36:37], -v[209:210]
	v_mul_f64 v[229:230], v[70:71], s[38:39]
	v_add_f64 v[48:49], v[199:200], v[48:49]
	v_mul_f64 v[199:200], v[8:9], s[42:43]
	v_mul_f64 v[231:232], v[46:47], s[38:39]
	v_add_f64 v[50:51], v[193:194], v[50:51]
	v_fma_f64 v[193:194], v[10:11], s[6:7], -v[213:214]
	v_mul_f64 v[233:234], v[8:9], s[28:29]
	v_add_f64 v[136:137], v[185:186], v[136:137]
	v_add_f64 v[185:186], v[94:95], v[215:216]
	v_fma_f64 v[215:216], v[161:162], s[10:11], -v[217:218]
	v_fma_f64 v[235:236], v[108:109], s[26:27], -v[229:230]
	v_mul_f64 v[237:238], v[70:71], s[40:41]
	v_mul_f64 v[239:240], v[167:168], s[42:43]
	v_add_f64 v[50:51], v[193:194], v[50:51]
	v_fma_f64 v[193:194], v[4:5], s[18:19], -v[223:224]
	v_fma_f64 v[221:222], v[0:1], s[36:37], -v[199:200]
	;; [unrolled: 1-line block ×3, first 2 shown]
	v_add_f64 v[185:186], v[215:216], v[185:186]
	v_add_f64 v[215:216], v[94:95], v[225:226]
	v_fma_f64 v[225:226], v[161:162], s[4:5], -v[227:228]
	v_mul_f64 v[243:244], v[8:9], s[30:31]
	v_mul_f64 v[245:246], v[167:168], s[46:47]
	v_add_f64 v[136:137], v[193:194], v[136:137]
	v_fma_f64 v[193:194], v[4:5], s[26:27], -v[231:232]
	v_mul_f64 v[247:248], v[66:67], s[16:17]
	v_add_f64 v[185:186], v[235:236], v[185:186]
	v_fma_f64 v[235:236], v[34:35], s[36:37], -v[239:240]
	v_add_f64 v[215:216], v[225:226], v[215:216]
	v_fma_f64 v[225:226], v[108:109], s[6:7], -v[237:238]
	v_add_f64 v[62:63], v[221:222], v[62:63]
	v_add_f64 v[136:137], v[241:242], v[136:137]
	;; [unrolled: 1-line block ×3, first 2 shown]
	v_fma_f64 v[193:194], v[0:1], s[18:19], -v[243:244]
	v_fma_f64 v[221:222], v[34:35], s[18:19], -v[245:246]
	v_add_f64 v[185:186], v[235:236], v[185:186]
	v_mul_f64 v[235:236], v[66:67], s[38:39]
	v_add_f64 v[215:216], v[225:226], v[215:216]
	v_fma_f64 v[225:226], v[14:15], s[6:7], -v[247:248]
	v_mul_f64 v[241:242], v[58:59], s[50:51]
	v_mul_f64 v[155:156], v[155:156], s[48:49]
	v_add_f64 v[50:51], v[193:194], v[50:51]
	v_mul_f64 v[159:160], v[159:160], s[34:35]
	v_mul_f64 v[70:71], v[70:71], s[42:43]
	;; [unrolled: 1-line block ×3, first 2 shown]
	v_add_f64 v[193:194], v[221:222], v[215:216]
	v_add_f64 v[185:186], v[225:226], v[185:186]
	v_fma_f64 v[215:216], v[14:15], s[26:27], -v[235:236]
	v_fma_f64 v[221:222], v[10:11], s[22:23], -v[241:242]
	v_mul_f64 v[225:226], v[58:59], s[48:49]
	v_fma_f64 v[83:84], v[161:162], s[26:27], -v[159:160]
	v_fma_f64 v[159:160], v[161:162], s[26:27], v[159:160]
	v_fma_f64 v[56:57], v[153:154], s[22:23], v[56:57]
	;; [unrolled: 1-line block ×4, first 2 shown]
	v_add_f64 v[193:194], v[215:216], v[193:194]
	v_add_f64 v[185:186], v[221:222], v[185:186]
	v_fma_f64 v[215:216], v[10:11], s[44:45], -v[225:226]
	v_mul_f64 v[221:222], v[46:47], s[48:49]
	v_fma_f64 v[76:77], v[161:162], s[6:7], v[76:77]
	v_add_f64 v[56:57], v[94:95], v[56:57]
	v_add_f64 v[100:101], v[94:95], v[100:101]
	v_fma_f64 v[104:105], v[161:162], s[18:19], v[104:105]
	v_mul_f64 v[58:59], v[58:59], s[20:21]
	v_fma_f64 v[134:135], v[108:109], s[18:19], v[134:135]
	v_add_f64 v[193:194], v[215:216], v[193:194]
	v_fma_f64 v[215:216], v[4:5], s[44:45], -v[221:222]
	v_fma_f64 v[102:103], v[108:109], s[44:45], v[102:103]
	v_add_f64 v[56:57], v[76:77], v[56:57]
	v_fma_f64 v[150:151], v[34:35], s[44:45], v[151:152]
	v_add_f64 v[76:77], v[104:105], v[100:101]
	v_fma_f64 v[100:101], v[10:11], s[4:5], -v[58:59]
	v_fma_f64 v[104:105], v[108:109], s[26:27], v[229:230]
	v_fma_f64 v[58:59], v[10:11], s[4:5], v[58:59]
	v_add_f64 v[185:186], v[215:216], v[185:186]
	v_mul_f64 v[215:216], v[46:47], s[28:29]
	v_add_f64 v[56:57], v[134:135], v[56:57]
	v_fma_f64 v[134:135], v[34:35], s[26:27], v[197:198]
	v_add_f64 v[76:77], v[102:103], v[76:77]
	v_fma_f64 v[102:103], v[34:35], s[36:37], v[239:240]
	v_mul_f64 v[46:47], v[46:47], s[24:25]
	v_fma_f64 v[249:250], v[4:5], s[22:23], -v[215:216]
	v_add_f64 v[56:57], v[150:151], v[56:57]
	v_fma_f64 v[150:151], v[14:15], s[22:23], v[175:176]
	v_add_f64 v[193:194], v[249:250], v[193:194]
	v_mul_f64 v[249:250], v[8:9], s[20:21]
	v_fma_f64 v[251:252], v[0:1], s[4:5], -v[249:250]
	v_add_f64 v[185:186], v[251:252], v[185:186]
	v_mul_f64 v[251:252], v[8:9], s[24:25]
	v_mul_f64 v[8:9], v[8:9], s[16:17]
	v_fma_f64 v[253:254], v[0:1], s[10:11], -v[251:252]
	v_add_f64 v[193:194], v[253:254], v[193:194]
	v_fma_f64 v[253:254], v[153:154], s[44:45], -v[155:156]
	v_fma_f64 v[155:156], v[153:154], s[44:45], v[155:156]
	v_add_f64 v[253:254], v[94:95], v[253:254]
	v_add_f64 v[155:156], v[94:95], v[155:156]
	;; [unrolled: 1-line block ×4, first 2 shown]
	v_fma_f64 v[159:160], v[108:109], s[36:37], -v[70:71]
	v_fma_f64 v[70:71], v[108:109], s[36:37], v[70:71]
	v_add_f64 v[83:84], v[159:160], v[83:84]
	v_add_f64 v[70:71], v[70:71], v[155:156]
	v_mul_f64 v[155:156], v[167:168], s[28:29]
	v_fma_f64 v[167:168], v[153:154], s[6:7], v[179:180]
	v_fma_f64 v[179:180], v[153:154], s[10:11], v[183:184]
	;; [unrolled: 1-line block ×3, first 2 shown]
	v_fma_f64 v[159:160], v[34:35], s[22:23], -v[155:156]
	v_fma_f64 v[155:156], v[34:35], s[22:23], v[155:156]
	v_add_f64 v[83:84], v[159:160], v[83:84]
	v_add_f64 v[70:71], v[155:156], v[70:71]
	v_fma_f64 v[155:156], v[153:154], s[18:19], v[211:212]
	v_fma_f64 v[159:160], v[153:154], s[36:37], v[219:220]
	;; [unrolled: 1-line block ×3, first 2 shown]
	v_fma_f64 v[157:158], v[14:15], s[18:19], -v[65:66]
	v_fma_f64 v[65:66], v[14:15], s[18:19], v[65:66]
	v_add_f64 v[155:156], v[94:95], v[155:156]
	v_add_f64 v[83:84], v[157:158], v[83:84]
	;; [unrolled: 1-line block ×6, first 2 shown]
	v_fma_f64 v[153:154], v[161:162], s[10:11], v[217:218]
	v_fma_f64 v[179:180], v[161:162], s[4:5], v[227:228]
	;; [unrolled: 1-line block ×3, first 2 shown]
	v_add_f64 v[65:66], v[65:66], v[70:71]
	v_add_f64 v[83:84], v[100:101], v[83:84]
	;; [unrolled: 1-line block ×7, first 2 shown]
	v_fma_f64 v[157:158], v[108:109], s[6:7], v[237:238]
	v_fma_f64 v[159:160], v[108:109], s[10:11], v[189:190]
	;; [unrolled: 1-line block ×4, first 2 shown]
	v_add_f64 v[70:71], v[104:105], v[70:71]
	v_add_f64 v[100:101], v[157:158], v[153:154]
	;; [unrolled: 1-line block ×5, first 2 shown]
	v_fma_f64 v[108:109], v[34:35], s[18:19], v[245:246]
	v_fma_f64 v[153:154], v[34:35], s[4:5], v[205:206]
	;; [unrolled: 1-line block ×4, first 2 shown]
	v_add_f64 v[44:45], v[58:59], v[65:66]
	v_add_f64 v[58:59], v[102:103], v[70:71]
	v_add_f64 v[70:71], v[134:135], v[104:105]
	v_fma_f64 v[102:103], v[14:15], s[26:27], v[235:236]
	v_add_f64 v[65:66], v[108:109], v[100:101]
	v_add_f64 v[60:61], v[153:154], v[60:61]
	;; [unrolled: 1-line block ×4, first 2 shown]
	v_fma_f64 v[94:95], v[4:5], s[10:11], -v[46:47]
	v_fma_f64 v[100:101], v[14:15], s[6:7], v[247:248]
	v_fma_f64 v[104:105], v[14:15], s[4:5], v[207:208]
	;; [unrolled: 1-line block ×5, first 2 shown]
	v_add_f64 v[65:66], v[102:103], v[65:66]
	v_add_f64 v[76:77], v[150:151], v[76:77]
	;; [unrolled: 1-line block ×6, first 2 shown]
	v_fma_f64 v[83:84], v[10:11], s[44:45], v[225:226]
	v_add_f64 v[14:15], v[14:15], v[34:35]
	v_fma_f64 v[34:35], v[4:5], s[10:11], v[46:47]
	v_fma_f64 v[46:47], v[10:11], s[22:23], v[241:242]
	;; [unrolled: 1-line block ×7, first 2 shown]
	v_add_f64 v[56:57], v[134:135], v[56:57]
	v_add_f64 v[12:13], v[34:35], v[44:45]
	;; [unrolled: 1-line block ×8, first 2 shown]
	v_fma_f64 v[14:15], v[0:1], s[6:7], -v[8:9]
	v_fma_f64 v[65:66], v[4:5], s[44:45], v[221:222]
	v_fma_f64 v[70:71], v[4:5], s[22:23], v[215:216]
	;; [unrolled: 1-line block ×7, first 2 shown]
	v_add_f64 v[56:57], v[102:103], v[56:57]
	v_fma_f64 v[8:9], v[0:1], s[6:7], v[8:9]
	v_add_f64 v[6:7], v[14:15], v[32:33]
	v_add_f64 v[14:15], v[65:66], v[34:35]
	v_add_f64 v[32:33], v[70:71], v[44:45]
	v_add_f64 v[44:45], v[83:84], v[58:59]
	v_fma_f64 v[58:59], v[0:1], s[10:11], v[251:252]
	v_add_f64 v[4:5], v[4:5], v[10:11]
	v_fma_f64 v[10:11], v[0:1], s[4:5], v[249:250]
	v_add_f64 v[34:35], v[76:77], v[46:47]
	v_add_f64 v[46:47], v[94:95], v[56:57]
	;; [unrolled: 1-line block ×3, first 2 shown]
	v_fma_f64 v[60:61], v[0:1], s[22:23], v[233:234]
	v_fma_f64 v[65:66], v[0:1], s[18:19], v[243:244]
	;; [unrolled: 1-line block ×5, first 2 shown]
	v_add_f64 v[2:3], v[8:9], v[12:13]
	v_add_f64 v[8:9], v[10:11], v[14:15]
	;; [unrolled: 1-line block ×8, first 2 shown]
	ds_write2_b64 v64, v[48:49], v[62:63] offset0:34 offset1:51
	ds_write2_b64 v64, v[136:137], v[50:51] offset0:68 offset1:85
	;; [unrolled: 1-line block ×7, first 2 shown]
	ds_write_b64 v64, v[32:33] offset:2176
	s_waitcnt lgkmcnt(0)
	s_barrier
	ds_read_b64 v[44:45], v139
	ds_read_b64 v[46:47], v141
	;; [unrolled: 1-line block ×8, first 2 shown]
	ds_read2_b64 v[0:3], v149 offset0:33 offset1:67
	ds_read2_b64 v[4:7], v149 offset0:101 offset1:135
	;; [unrolled: 1-line block ×4, first 2 shown]
                                        ; implicit-def: $vgpr34_vgpr35
	s_and_saveexec_b64 s[2:3], s[0:1]
	s_cbranch_execz .LBB0_14
; %bb.13:
	ds_read_b64 v[32:33], v144
	ds_read_b64 v[34:35], v145 offset:4488
.LBB0_14:
	s_or_b64 exec, exec, s[2:3]
	v_add_f64 v[65:66], v[122:123], v[130:131]
	v_add_f64 v[70:71], v[128:129], -v[132:133]
	v_add_f64 v[76:77], v[130:131], v[116:117]
	v_add_f64 v[94:95], v[126:127], -v[112:113]
	v_add_f64 v[102:103], v[114:115], -v[106:107]
	v_add_f64 v[83:84], v[124:125], v[118:119]
	v_add_f64 v[100:101], v[110:111], v[120:121]
	v_add_f64 v[74:75], v[74:75], -v[98:99]
	v_add_f64 v[65:66], v[65:66], v[124:125]
	v_mul_f64 v[104:105], v[70:71], s[38:39]
	v_mul_f64 v[106:107], v[70:71], s[50:51]
	;; [unrolled: 1-line block ×7, first 2 shown]
	v_add_f64 v[65:66], v[65:66], v[110:111]
	v_mul_f64 v[70:71], v[70:71], s[48:49]
	v_mul_f64 v[110:111], v[94:95], s[50:51]
	;; [unrolled: 1-line block ×3, first 2 shown]
	v_fma_f64 v[162:163], v[76:77], s[26:27], v[104:105]
	v_fma_f64 v[104:105], v[76:77], s[26:27], -v[104:105]
	v_fma_f64 v[164:165], v[76:77], s[22:23], v[106:107]
	v_mul_f64 v[130:131], v[94:95], s[30:31]
	v_add_f64 v[65:66], v[65:66], v[72:73]
	v_mul_f64 v[132:133], v[94:95], s[48:49]
	v_mul_f64 v[134:135], v[94:95], s[56:57]
	v_mul_f64 v[136:137], v[94:95], s[52:53]
	v_mul_f64 v[150:151], v[94:95], s[20:21]
	v_mul_f64 v[94:95], v[94:95], s[34:35]
	v_mul_f64 v[152:153], v[102:103], s[54:55]
	v_mul_f64 v[154:155], v[102:103], s[30:31]
	v_add_f64 v[65:66], v[65:66], v[68:69]
	v_fma_f64 v[106:107], v[76:77], s[22:23], -v[106:107]
	v_fma_f64 v[166:167], v[76:77], s[4:5], v[108:109]
	v_fma_f64 v[108:109], v[76:77], s[4:5], -v[108:109]
	v_fma_f64 v[168:169], v[76:77], s[6:7], v[112:113]
	;; [unrolled: 2-line block ×3, first 2 shown]
	v_fma_f64 v[114:115], v[76:77], s[10:11], -v[114:115]
	v_add_f64 v[65:66], v[65:66], v[42:43]
	v_fma_f64 v[172:173], v[76:77], s[18:19], v[124:125]
	v_fma_f64 v[124:125], v[76:77], s[18:19], -v[124:125]
	v_fma_f64 v[174:175], v[76:77], s[36:37], v[126:127]
	v_fma_f64 v[126:127], v[76:77], s[36:37], -v[126:127]
	;; [unrolled: 2-line block ×3, first 2 shown]
	v_fma_f64 v[76:77], v[83:84], s[22:23], v[110:111]
	v_add_f64 v[65:66], v[65:66], v[36:37]
	v_fma_f64 v[110:111], v[83:84], s[22:23], -v[110:111]
	v_fma_f64 v[178:179], v[83:84], s[6:7], v[128:129]
	v_add_f64 v[162:163], v[122:123], v[162:163]
	v_add_f64 v[104:105], v[122:123], v[104:105]
	;; [unrolled: 1-line block ×3, first 2 shown]
	v_mul_f64 v[156:157], v[102:103], s[58:59]
	v_mul_f64 v[158:159], v[102:103], s[52:53]
	v_add_f64 v[65:66], v[65:66], v[20:21]
	v_fma_f64 v[128:129], v[83:84], s[6:7], -v[128:129]
	v_fma_f64 v[180:181], v[83:84], s[18:19], v[130:131]
	v_fma_f64 v[130:131], v[83:84], s[18:19], -v[130:131]
	v_fma_f64 v[182:183], v[83:84], s[44:45], v[132:133]
	;; [unrolled: 2-line block ×3, first 2 shown]
	v_fma_f64 v[134:135], v[83:84], s[36:37], -v[134:135]
	v_add_f64 v[65:66], v[65:66], v[16:17]
	v_fma_f64 v[186:187], v[83:84], s[10:11], v[136:137]
	v_fma_f64 v[136:137], v[83:84], s[10:11], -v[136:137]
	v_fma_f64 v[188:189], v[83:84], s[4:5], v[150:151]
	v_fma_f64 v[150:151], v[83:84], s[4:5], -v[150:151]
	;; [unrolled: 2-line block ×3, first 2 shown]
	v_fma_f64 v[94:95], v[100:101], s[4:5], v[152:153]
	v_add_f64 v[65:66], v[65:66], v[24:25]
	v_fma_f64 v[192:193], v[100:101], s[18:19], v[154:155]
	v_add_f64 v[106:107], v[122:123], v[106:107]
	v_add_f64 v[166:167], v[122:123], v[166:167]
	;; [unrolled: 1-line block ×7, first 2 shown]
	v_mul_f64 v[160:161], v[102:103], s[28:29]
	v_fma_f64 v[152:153], v[100:101], s[4:5], -v[152:153]
	v_fma_f64 v[154:155], v[100:101], s[18:19], -v[154:155]
	v_fma_f64 v[194:195], v[100:101], s[44:45], v[156:157]
	v_fma_f64 v[196:197], v[100:101], s[10:11], v[158:159]
	v_add_f64 v[108:109], v[122:123], v[108:109]
	v_add_f64 v[112:113], v[122:123], v[112:113]
	;; [unrolled: 1-line block ×17, first 2 shown]
	v_mul_f64 v[110:111], v[102:103], s[38:39]
	v_add_f64 v[65:66], v[65:66], v[120:121]
	v_add_f64 v[114:115], v[134:135], v[114:115]
	;; [unrolled: 1-line block ×9, first 2 shown]
	v_mul_f64 v[128:129], v[102:103], s[40:41]
	v_mul_f64 v[98:99], v[102:103], s[42:43]
	v_fma_f64 v[102:103], v[100:101], s[26:27], v[110:111]
	v_fma_f64 v[110:111], v[100:101], s[26:27], -v[110:111]
	v_fma_f64 v[156:157], v[100:101], s[44:45], -v[156:157]
	;; [unrolled: 1-line block ×3, first 2 shown]
	v_fma_f64 v[198:199], v[100:101], s[22:23], v[160:161]
	v_add_f64 v[65:66], v[65:66], v[116:117]
	v_fma_f64 v[116:117], v[100:101], s[22:23], -v[160:161]
	v_add_f64 v[108:109], v[130:131], v[108:109]
	v_add_f64 v[130:131], v[186:187], v[172:173]
	;; [unrolled: 1-line block ×4, first 2 shown]
	v_mul_f64 v[78:79], v[74:75], s[40:41]
	v_fma_f64 v[134:135], v[100:101], s[36:37], v[98:99]
	v_fma_f64 v[98:99], v[100:101], s[36:37], -v[98:99]
	v_add_f64 v[114:115], v[116:117], v[114:115]
	v_fma_f64 v[116:117], v[100:101], s[6:7], v[128:129]
	v_fma_f64 v[128:129], v[100:101], s[6:7], -v[128:129]
	v_add_f64 v[100:101], v[110:111], v[124:125]
	v_mul_f64 v[110:111], v[74:75], s[48:49]
	v_add_f64 v[112:113], v[132:133], v[112:113]
	v_add_f64 v[132:133], v[188:189], v[174:175]
	;; [unrolled: 1-line block ×4, first 2 shown]
	v_mul_f64 v[130:131], v[74:75], s[34:35]
	v_add_f64 v[124:125], v[128:129], v[126:127]
	v_fma_f64 v[126:127], v[72:73], s[6:7], v[78:79]
	v_mul_f64 v[128:129], v[74:75], s[52:53]
	v_fma_f64 v[78:79], v[72:73], s[6:7], -v[78:79]
	v_fma_f64 v[98:99], v[72:73], s[44:45], v[110:111]
	v_add_f64 v[120:121], v[184:185], v[170:171]
	v_add_f64 v[108:109], v[156:157], v[108:109]
	;; [unrolled: 1-line block ×3, first 2 shown]
	v_fma_f64 v[110:111], v[72:73], s[44:45], -v[110:111]
	v_add_f64 v[76:77], v[126:127], v[76:77]
	v_mul_f64 v[126:127], v[74:75], s[54:55]
	v_fma_f64 v[132:133], v[72:73], s[10:11], v[128:129]
	v_fma_f64 v[128:129], v[72:73], s[10:11], -v[128:129]
	v_add_f64 v[78:79], v[78:79], v[83:84]
	v_add_f64 v[83:84], v[98:99], v[94:95]
	v_fma_f64 v[94:95], v[72:73], s[26:27], v[130:131]
	v_add_f64 v[112:113], v[158:159], v[112:113]
	v_add_f64 v[120:121], v[198:199], v[120:121]
	;; [unrolled: 1-line block ×3, first 2 shown]
	v_fma_f64 v[104:105], v[72:73], s[26:27], -v[130:131]
	v_fma_f64 v[110:111], v[72:73], s[4:5], v[126:127]
	v_add_f64 v[108:109], v[128:129], v[108:109]
	v_mul_f64 v[128:129], v[74:75], s[42:43]
	v_fma_f64 v[126:127], v[72:73], s[4:5], -v[126:127]
	v_add_f64 v[94:95], v[94:95], v[122:123]
	v_mul_f64 v[122:123], v[74:75], s[46:47]
	v_add_f64 v[54:55], v[54:55], -v[96:97]
	v_add_f64 v[104:105], v[104:105], v[112:113]
	v_add_f64 v[110:111], v[110:111], v[120:121]
	v_mul_f64 v[74:75], v[74:75], s[28:29]
	v_fma_f64 v[96:97], v[72:73], s[36:37], v[128:129]
	v_add_f64 v[112:113], v[126:127], v[114:115]
	v_fma_f64 v[114:115], v[72:73], s[36:37], -v[128:129]
	v_fma_f64 v[120:121], v[72:73], s[18:19], v[122:123]
	v_fma_f64 v[122:123], v[72:73], s[18:19], -v[122:123]
	v_add_f64 v[26:27], v[68:69], v[26:27]
	v_mul_f64 v[67:68], v[54:55], s[24:25]
	v_fma_f64 v[126:127], v[72:73], s[22:23], v[74:75]
	v_add_f64 v[96:97], v[96:97], v[102:103]
	v_fma_f64 v[72:73], v[72:73], s[22:23], -v[74:75]
	v_add_f64 v[74:75], v[114:115], v[100:101]
	v_mul_f64 v[100:101], v[54:55], s[56:57]
	v_add_f64 v[102:103], v[120:121], v[116:117]
	v_add_f64 v[114:115], v[122:123], v[124:125]
	v_fma_f64 v[116:117], v[26:27], s[10:11], v[67:68]
	v_mul_f64 v[120:121], v[54:55], s[28:29]
	v_fma_f64 v[67:68], v[26:27], s[10:11], -v[67:68]
	v_mul_f64 v[122:123], v[54:55], s[54:55]
	v_add_f64 v[69:70], v[72:73], v[70:71]
	v_fma_f64 v[71:72], v[26:27], s[36:37], v[100:101]
	v_fma_f64 v[100:101], v[26:27], s[36:37], -v[100:101]
	v_add_f64 v[118:119], v[190:191], v[176:177]
	v_add_f64 v[76:77], v[116:117], v[76:77]
	v_mul_f64 v[116:117], v[54:55], s[48:49]
	v_fma_f64 v[124:125], v[26:27], s[22:23], v[120:121]
	v_fma_f64 v[120:121], v[26:27], s[22:23], -v[120:121]
	v_add_f64 v[67:68], v[67:68], v[78:79]
	v_fma_f64 v[78:79], v[26:27], s[4:5], v[122:123]
	v_add_f64 v[71:72], v[71:72], v[83:84]
	v_add_f64 v[83:84], v[100:101], v[98:99]
	v_fma_f64 v[98:99], v[26:27], s[4:5], -v[122:123]
	v_fma_f64 v[100:101], v[26:27], s[44:45], v[116:117]
	v_fma_f64 v[116:117], v[26:27], s[44:45], -v[116:117]
	v_add_f64 v[108:109], v[120:121], v[108:109]
	v_mul_f64 v[120:121], v[54:55], s[16:17]
	v_add_f64 v[78:79], v[78:79], v[94:95]
	v_mul_f64 v[94:95], v[54:55], s[38:39]
	v_add_f64 v[38:39], v[38:39], -v[52:53]
	v_mul_f64 v[52:53], v[54:55], s[30:31]
	v_add_f64 v[118:119], v[134:135], v[118:119]
	v_add_f64 v[98:99], v[98:99], v[104:105]
	;; [unrolled: 1-line block ×3, first 2 shown]
	v_fma_f64 v[54:55], v[26:27], s[6:7], v[120:121]
	v_add_f64 v[104:105], v[116:117], v[112:113]
	v_fma_f64 v[110:111], v[26:27], s[6:7], -v[120:121]
	v_fma_f64 v[112:113], v[26:27], s[26:27], v[94:95]
	v_fma_f64 v[94:95], v[26:27], s[26:27], -v[94:95]
	v_add_f64 v[40:41], v[42:43], v[40:41]
	v_mul_f64 v[42:43], v[38:39], s[30:31]
	v_fma_f64 v[116:117], v[26:27], s[18:19], v[52:53]
	v_fma_f64 v[26:27], v[26:27], s[18:19], -v[52:53]
	v_add_f64 v[118:119], v[126:127], v[118:119]
	v_add_f64 v[54:55], v[54:55], v[96:97]
	;; [unrolled: 1-line block ×4, first 2 shown]
	v_mul_f64 v[96:97], v[38:39], s[52:53]
	v_fma_f64 v[102:103], v[40:41], s[18:19], v[42:43]
	v_mul_f64 v[112:113], v[38:39], s[38:39]
	v_add_f64 v[26:27], v[26:27], v[69:70]
	v_fma_f64 v[42:43], v[40:41], s[18:19], -v[42:43]
	v_mul_f64 v[69:70], v[38:39], s[42:43]
	v_add_f64 v[94:95], v[94:95], v[114:115]
	v_add_f64 v[110:111], v[116:117], v[118:119]
	v_fma_f64 v[114:115], v[40:41], s[10:11], v[96:97]
	v_fma_f64 v[96:97], v[40:41], s[10:11], -v[96:97]
	v_add_f64 v[75:76], v[102:103], v[76:77]
	v_mul_f64 v[102:103], v[38:39], s[16:17]
	v_fma_f64 v[116:117], v[40:41], s[26:27], v[112:113]
	v_fma_f64 v[112:113], v[40:41], s[26:27], -v[112:113]
	v_add_f64 v[42:43], v[42:43], v[67:68]
	v_fma_f64 v[67:68], v[40:41], s[36:37], v[69:70]
	v_add_f64 v[22:23], v[30:31], -v[22:23]
	v_add_f64 v[83:84], v[96:97], v[83:84]
	v_mul_f64 v[30:31], v[38:39], s[20:21]
	v_fma_f64 v[96:97], v[40:41], s[6:7], v[102:103]
	v_add_f64 v[106:107], v[132:133], v[106:107]
	v_add_f64 v[108:109], v[112:113], v[108:109]
	v_mul_f64 v[112:113], v[38:39], s[50:51]
	v_add_f64 v[67:68], v[67:68], v[78:79]
	v_fma_f64 v[77:78], v[40:41], s[6:7], -v[102:103]
	v_mul_f64 v[102:103], v[38:39], s[48:49]
	v_fma_f64 v[69:70], v[40:41], s[36:37], -v[69:70]
	v_add_f64 v[96:97], v[96:97], v[100:101]
	v_add_f64 v[24:25], v[36:37], v[24:25]
	v_mul_f64 v[36:37], v[22:23], s[42:43]
	v_fma_f64 v[38:39], v[40:41], s[22:23], v[112:113]
	v_add_f64 v[106:107], v[124:125], v[106:107]
	v_add_f64 v[77:78], v[77:78], v[104:105]
	v_fma_f64 v[100:101], v[40:41], s[44:45], v[102:103]
	v_fma_f64 v[102:103], v[40:41], s[44:45], -v[102:103]
	v_fma_f64 v[104:105], v[40:41], s[4:5], v[30:31]
	v_fma_f64 v[30:31], v[40:41], s[4:5], -v[30:31]
	v_add_f64 v[69:70], v[69:70], v[98:99]
	v_fma_f64 v[98:99], v[40:41], s[22:23], -v[112:113]
	v_add_f64 v[38:39], v[38:39], v[54:55]
	v_mul_f64 v[54:55], v[22:23], s[20:21]
	v_add_f64 v[40:41], v[100:101], v[73:74]
	v_add_f64 v[73:74], v[102:103], v[94:95]
	v_fma_f64 v[94:95], v[24:25], s[36:37], v[36:37]
	v_mul_f64 v[100:101], v[22:23], s[40:41]
	v_fma_f64 v[36:37], v[24:25], s[36:37], -v[36:37]
	v_add_f64 v[26:27], v[30:31], v[26:27]
	v_mul_f64 v[30:31], v[22:23], s[46:47]
	v_add_f64 v[71:72], v[114:115], v[71:72]
	v_add_f64 v[106:107], v[116:117], v[106:107]
	;; [unrolled: 1-line block ×4, first 2 shown]
	v_fma_f64 v[102:103], v[24:25], s[4:5], v[54:55]
	v_fma_f64 v[54:55], v[24:25], s[4:5], -v[54:55]
	v_add_f64 v[75:76], v[94:95], v[75:76]
	v_mul_f64 v[94:95], v[22:23], s[38:39]
	v_fma_f64 v[104:105], v[24:25], s[6:7], v[100:101]
	v_add_f64 v[36:37], v[36:37], v[42:43]
	v_fma_f64 v[42:43], v[24:25], s[6:7], -v[100:101]
	v_fma_f64 v[100:101], v[24:25], s[18:19], v[30:31]
	v_add_f64 v[71:72], v[102:103], v[71:72]
	v_add_f64 v[54:55], v[54:55], v[83:84]
	v_fma_f64 v[30:31], v[24:25], s[18:19], -v[30:31]
	v_fma_f64 v[83:84], v[24:25], s[26:27], v[94:95]
	v_add_f64 v[102:103], v[104:105], v[106:107]
	v_mul_f64 v[104:105], v[22:23], s[48:49]
	v_fma_f64 v[94:95], v[24:25], s[26:27], -v[94:95]
	v_add_f64 v[67:68], v[100:101], v[67:68]
	v_mul_f64 v[100:101], v[22:23], s[28:29]
	v_add_f64 v[18:19], v[28:29], -v[18:19]
	v_add_f64 v[30:31], v[30:31], v[69:70]
	v_add_f64 v[69:70], v[83:84], v[96:97]
	v_mul_f64 v[22:23], v[22:23], s[24:25]
	v_fma_f64 v[28:29], v[24:25], s[44:45], v[104:105]
	v_fma_f64 v[83:84], v[24:25], s[44:45], -v[104:105]
	v_add_f64 v[77:78], v[94:95], v[77:78]
	v_fma_f64 v[94:95], v[24:25], s[22:23], v[100:101]
	v_add_f64 v[16:17], v[20:21], v[16:17]
	v_mul_f64 v[20:21], v[18:19], s[48:49]
	v_fma_f64 v[96:97], v[24:25], s[22:23], -v[100:101]
	v_add_f64 v[42:43], v[42:43], v[108:109]
	v_add_f64 v[28:29], v[28:29], v[38:39]
	;; [unrolled: 1-line block ×3, first 2 shown]
	v_fma_f64 v[52:53], v[24:25], s[10:11], v[22:23]
	v_mul_f64 v[83:84], v[18:19], s[34:35]
	v_add_f64 v[40:41], v[94:95], v[40:41]
	v_fma_f64 v[22:23], v[24:25], s[10:11], -v[22:23]
	v_fma_f64 v[24:25], v[16:17], s[44:45], v[20:21]
	v_mul_f64 v[94:95], v[18:19], s[42:43]
	v_fma_f64 v[20:21], v[16:17], s[44:45], -v[20:21]
	v_add_f64 v[73:74], v[96:97], v[73:74]
	v_add_f64 v[52:53], v[52:53], v[98:99]
	v_mul_f64 v[98:99], v[18:19], s[28:29]
	v_fma_f64 v[96:97], v[16:17], s[26:27], v[83:84]
	v_fma_f64 v[83:84], v[16:17], s[26:27], -v[83:84]
	v_add_f64 v[22:23], v[22:23], v[26:27]
	v_add_f64 v[24:25], v[24:25], v[75:76]
	;; [unrolled: 1-line block ×3, first 2 shown]
	v_fma_f64 v[20:21], v[16:17], s[36:37], -v[94:95]
	v_fma_f64 v[26:27], v[16:17], s[36:37], v[94:95]
	v_fma_f64 v[75:76], v[16:17], s[22:23], v[98:99]
	v_mul_f64 v[94:95], v[18:19], s[30:31]
	v_add_f64 v[71:72], v[96:97], v[71:72]
	v_add_f64 v[54:55], v[83:84], v[54:55]
	v_fma_f64 v[83:84], v[16:17], s[22:23], -v[98:99]
	v_mul_f64 v[96:97], v[18:19], s[20:21]
	v_add_f64 v[20:21], v[20:21], v[42:43]
	v_mul_f64 v[42:43], v[18:19], s[24:25]
	v_mul_f64 v[18:19], v[18:19], s[16:17]
	v_add_f64 v[67:68], v[75:76], v[67:68]
	v_fma_f64 v[75:76], v[16:17], s[18:19], v[94:95]
	v_add_f64 v[26:27], v[26:27], v[102:103]
	v_add_f64 v[30:31], v[83:84], v[30:31]
	v_fma_f64 v[83:84], v[16:17], s[18:19], -v[94:95]
	v_fma_f64 v[94:95], v[16:17], s[4:5], v[96:97]
	v_fma_f64 v[98:99], v[16:17], s[10:11], v[42:43]
	v_fma_f64 v[96:97], v[16:17], s[4:5], -v[96:97]
	v_fma_f64 v[42:43], v[16:17], s[10:11], -v[42:43]
	v_fma_f64 v[100:101], v[16:17], s[6:7], v[18:19]
	v_fma_f64 v[16:17], v[16:17], s[6:7], -v[18:19]
	v_add_f64 v[18:19], v[75:76], v[69:70]
	v_add_f64 v[69:70], v[83:84], v[77:78]
	;; [unrolled: 1-line block ×8, first 2 shown]
	s_waitcnt lgkmcnt(0)
	s_barrier
	ds_write2_b64 v64, v[65:66], v[24:25] offset1:17
	ds_write2_b64 v64, v[71:72], v[26:27] offset0:34 offset1:51
	ds_write2_b64 v64, v[67:68], v[18:19] offset0:68 offset1:85
	;; [unrolled: 1-line block ×7, first 2 shown]
	ds_write_b64 v64, v[36:37] offset:2176
	s_waitcnt lgkmcnt(0)
	s_barrier
	ds_read2_b64 v[16:19], v149 offset0:33 offset1:67
	ds_read2_b64 v[20:23], v149 offset0:101 offset1:135
	ds_read_b64 v[40:41], v139
	ds_read_b64 v[42:43], v141
	;; [unrolled: 1-line block ×4, first 2 shown]
	ds_read2_b64 v[24:27], v149 offset0:169 offset1:203
	ds_read2_b64 v[28:31], v148 offset0:109 offset1:143
	ds_read_b64 v[64:65], v90
	ds_read_b64 v[66:67], v140
	;; [unrolled: 1-line block ×4, first 2 shown]
                                        ; implicit-def: $vgpr38_vgpr39
	s_and_saveexec_b64 s[2:3], s[0:1]
	s_cbranch_execz .LBB0_16
; %bb.15:
	ds_read_b64 v[36:37], v144
	ds_read_b64 v[38:39], v145 offset:4488
	v_mov_b32_e32 v93, v82
.LBB0_16:
	s_or_b64 exec, exec, s[2:3]
	s_and_saveexec_b64 s[2:3], vcc
	s_cbranch_execz .LBB0_19
; %bb.17:
	v_mov_b32_e32 v82, 0
	v_lshlrev_b64 v[72:73], 4, v[81:82]
	v_mov_b32_e32 v106, s9
	v_add_co_u32_e32 v72, vcc, s8, v72
	v_addc_co_u32_e32 v73, vcc, v106, v73, vcc
	v_add_co_u32_e32 v83, vcc, 0x1000, v72
	v_mov_b32_e32 v90, v82
	v_addc_co_u32_e32 v84, vcc, 0, v73, vcc
	v_lshlrev_b64 v[72:73], 4, v[89:90]
	s_movk_i32 s2, 0x1000
	v_add_co_u32_e32 v72, vcc, s8, v72
	v_addc_co_u32_e32 v73, vcc, v106, v73, vcc
	v_add_co_u32_e32 v89, vcc, s2, v72
	v_addc_co_u32_e32 v90, vcc, 0, v73, vcc
	global_load_dwordx4 v[72:75], v[83:84], off offset:256
	global_load_dwordx4 v[76:79], v[89:90], off offset:256
	v_mov_b32_e32 v89, v82
	v_lshlrev_b64 v[83:84], 4, v[88:89]
	v_mov_b32_e32 v88, v82
	v_add_co_u32_e32 v81, vcc, s8, v83
	v_addc_co_u32_e32 v84, vcc, v106, v84, vcc
	v_add_co_u32_e32 v83, vcc, s2, v81
	v_lshlrev_b64 v[87:88], 4, v[87:88]
	v_addc_co_u32_e32 v84, vcc, 0, v84, vcc
	v_add_co_u32_e32 v81, vcc, s8, v87
	v_addc_co_u32_e32 v88, vcc, v106, v88, vcc
	v_add_co_u32_e32 v87, vcc, s2, v81
	v_addc_co_u32_e32 v88, vcc, 0, v88, vcc
	global_load_dwordx4 v[94:97], v[83:84], off offset:256
	global_load_dwordx4 v[98:101], v[87:88], off offset:256
	v_mov_b32_e32 v87, v82
	v_lshlrev_b64 v[83:84], 4, v[86:87]
	v_mov_b32_e32 v86, v82
	v_add_co_u32_e32 v81, vcc, s8, v83
	v_addc_co_u32_e32 v84, vcc, v106, v84, vcc
	v_add_co_u32_e32 v83, vcc, s2, v81
	v_lshlrev_b64 v[85:86], 4, v[85:86]
	v_addc_co_u32_e32 v84, vcc, 0, v84, vcc
	v_add_co_u32_e32 v81, vcc, s8, v85
	v_addc_co_u32_e32 v85, vcc, v106, v86, vcc
	v_add_co_u32_e32 v89, vcc, s2, v81
	v_addc_co_u32_e32 v90, vcc, 0, v85, vcc
	global_load_dwordx4 v[85:88], v[83:84], off offset:256
	global_load_dwordx4 v[102:105], v[89:90], off offset:256
	v_mov_b32_e32 v92, v82
	v_lshlrev_b64 v[83:84], 4, v[91:92]
	v_add_co_u32_e32 v81, vcc, s8, v83
	v_addc_co_u32_e32 v84, vcc, v106, v84, vcc
	v_add_co_u32_e32 v83, vcc, s2, v81
	v_addc_co_u32_e32 v84, vcc, 0, v84, vcc
	v_mov_b32_e32 v81, v82
	global_load_dwordx4 v[89:92], v[83:84], off offset:256
	v_lshlrev_b64 v[83:84], 4, v[80:81]
	v_add_co_u32_e32 v81, vcc, s8, v83
	v_addc_co_u32_e32 v84, vcc, v106, v84, vcc
	v_add_co_u32_e32 v83, vcc, s2, v81
	v_addc_co_u32_e32 v84, vcc, 0, v84, vcc
	global_load_dwordx4 v[106:109], v[83:84], off offset:256
	s_waitcnt vmcnt(7)
	v_mul_f64 v[83:84], v[14:15], v[74:75]
	s_waitcnt lgkmcnt(4)
	v_mul_f64 v[74:75], v[30:31], v[74:75]
	s_waitcnt vmcnt(6)
	v_mul_f64 v[110:111], v[12:13], v[78:79]
	v_fma_f64 v[30:31], v[30:31], v[72:73], v[83:84]
	v_fma_f64 v[14:15], v[14:15], v[72:73], -v[74:75]
	v_mul_f64 v[72:73], v[28:29], v[78:79]
	v_fma_f64 v[78:79], v[28:29], v[76:77], v[110:111]
	s_waitcnt lgkmcnt(0)
	v_add_f64 v[30:31], v[70:71], -v[30:31]
	v_add_f64 v[28:29], v[62:63], -v[14:15]
	v_fma_f64 v[72:73], v[12:13], v[76:77], -v[72:73]
	v_add_f64 v[12:13], v[68:69], -v[78:79]
	s_waitcnt vmcnt(5)
	v_mul_f64 v[74:75], v[10:11], v[96:97]
	v_mul_f64 v[83:84], v[26:27], v[96:97]
	s_waitcnt vmcnt(4)
	v_mul_f64 v[96:97], v[8:9], v[100:101]
	v_mul_f64 v[14:15], v[24:25], v[100:101]
	v_fma_f64 v[74:75], v[26:27], v[94:95], v[74:75]
	v_fma_f64 v[76:77], v[10:11], v[94:95], -v[83:84]
	v_fma_f64 v[78:79], v[24:25], v[98:99], v[96:97]
	v_fma_f64 v[26:27], v[70:71], 2.0, -v[30:31]
	v_fma_f64 v[24:25], v[62:63], 2.0, -v[28:29]
	v_fma_f64 v[8:9], v[8:9], v[98:99], -v[14:15]
	v_fma_f64 v[62:63], v[68:69], 2.0, -v[12:13]
	v_add_f64 v[10:11], v[60:61], -v[72:73]
	v_add_f64 v[70:71], v[66:67], -v[74:75]
	;; [unrolled: 1-line block ×4, first 2 shown]
	s_waitcnt vmcnt(3)
	v_mul_f64 v[83:84], v[22:23], v[87:88]
	v_mul_f64 v[14:15], v[6:7], v[87:88]
	v_add_f64 v[72:73], v[56:57], -v[8:9]
	v_fma_f64 v[78:79], v[66:67], 2.0, -v[70:71]
	s_waitcnt vmcnt(2)
	v_mul_f64 v[66:67], v[4:5], v[104:105]
	v_fma_f64 v[76:77], v[58:59], 2.0, -v[68:69]
	v_fma_f64 v[8:9], v[64:65], 2.0, -v[74:75]
	;; [unrolled: 1-line block ×3, first 2 shown]
	v_fma_f64 v[58:59], v[6:7], v[85:86], -v[83:84]
	v_fma_f64 v[14:15], v[22:23], v[85:86], v[14:15]
	v_fma_f64 v[6:7], v[56:57], 2.0, -v[72:73]
	v_mul_f64 v[56:57], v[20:21], v[104:105]
	v_fma_f64 v[66:67], v[20:21], v[102:103], v[66:67]
	s_waitcnt vmcnt(1)
	v_mul_f64 v[64:65], v[2:3], v[91:92]
	v_mul_f64 v[83:84], v[18:19], v[91:92]
	v_add_f64 v[20:21], v[50:51], -v[58:59]
	v_add_f64 v[22:23], v[54:55], -v[14:15]
	v_fma_f64 v[56:57], v[4:5], v[102:103], -v[56:57]
	v_add_f64 v[4:5], v[52:53], -v[66:67]
	v_fma_f64 v[18:19], v[18:19], v[89:90], v[64:65]
	v_fma_f64 v[64:65], v[2:3], v[89:90], -v[83:84]
	v_fma_f64 v[14:15], v[50:51], 2.0, -v[20:21]
	s_waitcnt vmcnt(0)
	v_mul_f64 v[85:86], v[0:1], v[108:109]
	v_mul_f64 v[58:59], v[16:17], v[108:109]
	v_add_f64 v[2:3], v[48:49], -v[56:57]
	v_fma_f64 v[50:51], v[52:53], 2.0, -v[4:5]
	v_add_f64 v[52:53], v[46:47], -v[64:65]
	v_fma_f64 v[66:67], v[16:17], v[106:107], v[85:86]
	v_fma_f64 v[0:1], v[0:1], v[106:107], -v[58:59]
	v_fma_f64 v[16:17], v[54:55], 2.0, -v[22:23]
	v_add_f64 v[54:55], v[42:43], -v[18:19]
	v_mad_u64_u32 v[18:19], s[2:3], s12, v80, 0
	v_fma_f64 v[64:65], v[46:47], 2.0, -v[52:53]
	v_add_u32_e32 v46, 0x121, v80
	v_add_f64 v[58:59], v[40:41], -v[66:67]
	v_add_f64 v[56:57], v[44:45], -v[0:1]
	v_mov_b32_e32 v0, v19
	v_fma_f64 v[66:67], v[42:43], 2.0, -v[54:55]
	v_mad_u64_u32 v[0:1], s[2:3], s13, v80, v[0:1]
	v_mov_b32_e32 v1, s15
	v_fma_f64 v[48:49], v[48:49], 2.0, -v[2:3]
	v_fma_f64 v[42:43], v[40:41], 2.0, -v[58:59]
	;; [unrolled: 1-line block ×3, first 2 shown]
	buffer_load_dword v44, off, s[60:63], 0 ; 4-byte Folded Reload
	buffer_load_dword v45, off, s[60:63], 0 offset:4 ; 4-byte Folded Reload
	v_mov_b32_e32 v19, v0
	v_lshlrev_b64 v[18:19], 4, v[18:19]
	s_waitcnt vmcnt(1)
	v_add_co_u32_e32 v0, vcc, s14, v44
	s_waitcnt vmcnt(0)
	v_addc_co_u32_e32 v1, vcc, v1, v45, vcc
	v_mad_u64_u32 v[44:45], s[2:3], s12, v46, 0
	v_add_co_u32_e32 v18, vcc, v0, v18
	v_addc_co_u32_e32 v19, vcc, v1, v19, vcc
	global_store_dwordx4 v[18:19], v[40:43], off
	v_mov_b32_e32 v18, v45
	v_mad_u64_u32 v[18:19], s[2:3], s13, v46, v[18:19]
	v_mad_u64_u32 v[40:41], s[2:3], s12, v138, 0
	v_mov_b32_e32 v45, v18
	v_lshlrev_b64 v[18:19], 4, v[44:45]
	v_mad_u64_u32 v[41:42], s[4:5], s13, v138, v[41:42]
	v_add_co_u32_e32 v18, vcc, v0, v18
	v_addc_co_u32_e32 v19, vcc, v1, v19, vcc
	v_add_u32_e32 v42, 0x143, v80
	global_store_dwordx4 v[18:19], v[56:59], off
	v_lshlrev_b64 v[18:19], 4, v[40:41]
	v_mad_u64_u32 v[40:41], s[4:5], s12, v42, 0
	v_add_u32_e32 v44, 0x44, v80
	v_add_co_u32_e32 v18, vcc, v0, v18
	v_mad_u64_u32 v[41:42], s[4:5], s13, v42, v[41:42]
	v_mad_u64_u32 v[42:43], s[4:5], s12, v44, 0
	v_addc_co_u32_e32 v19, vcc, v1, v19, vcc
	global_store_dwordx4 v[18:19], v[64:67], off
	v_lshlrev_b64 v[18:19], 4, v[40:41]
	v_mov_b32_e32 v40, v43
	v_mad_u64_u32 v[40:41], s[4:5], s13, v44, v[40:41]
	v_add_co_u32_e32 v18, vcc, v0, v18
	v_addc_co_u32_e32 v19, vcc, v1, v19, vcc
	v_mov_b32_e32 v43, v40
	global_store_dwordx4 v[18:19], v[52:55], off
	v_lshlrev_b64 v[18:19], 4, v[42:43]
	v_add_u32_e32 v42, 0x165, v80
	v_mad_u64_u32 v[40:41], s[4:5], s12, v42, 0
	v_add_co_u32_e32 v18, vcc, v0, v18
	v_mad_u64_u32 v[41:42], s[4:5], s13, v42, v[41:42]
	v_addc_co_u32_e32 v19, vcc, v1, v19, vcc
	v_add_u32_e32 v44, 0x66, v80
	global_store_dwordx4 v[18:19], v[48:51], off
	v_lshlrev_b64 v[18:19], 4, v[40:41]
	v_mad_u64_u32 v[42:43], s[4:5], s12, v44, 0
	v_add_co_u32_e32 v18, vcc, v0, v18
	v_addc_co_u32_e32 v19, vcc, v1, v19, vcc
	global_store_dwordx4 v[18:19], v[2:5], off
	v_add_u32_e32 v18, 0x187, v80
	v_mov_b32_e32 v40, v43
	v_mad_u64_u32 v[4:5], s[4:5], s12, v18, 0
	v_mad_u64_u32 v[40:41], s[4:5], s13, v44, v[40:41]
	;; [unrolled: 1-line block ×3, first 2 shown]
	v_mov_b32_e32 v43, v40
	v_add_u32_e32 v19, 0x88, v80
	v_lshlrev_b64 v[2:3], 4, v[42:43]
	v_mad_u64_u32 v[40:41], s[4:5], s12, v19, 0
	v_add_co_u32_e32 v2, vcc, v0, v2
	v_addc_co_u32_e32 v3, vcc, v1, v3, vcc
	v_mov_b32_e32 v5, v18
	global_store_dwordx4 v[2:3], v[14:17], off
	v_lshlrev_b64 v[2:3], 4, v[4:5]
	v_mov_b32_e32 v4, v41
	v_mad_u64_u32 v[4:5], s[4:5], s13, v19, v[4:5]
	v_add_u32_e32 v14, 0x1a9, v80
	v_add_co_u32_e32 v2, vcc, v0, v2
	v_mov_b32_e32 v41, v4
	v_mad_u64_u32 v[4:5], s[4:5], s12, v14, 0
	v_addc_co_u32_e32 v3, vcc, v1, v3, vcc
	v_mad_u64_u32 v[14:15], s[4:5], s13, v14, v[5:6]
	v_add_u32_e32 v17, 0xaa, v80
	global_store_dwordx4 v[2:3], v[20:23], off
	v_lshlrev_b64 v[2:3], 4, v[40:41]
	v_mad_u64_u32 v[15:16], s[4:5], s12, v17, 0
	v_add_co_u32_e32 v2, vcc, v0, v2
	v_addc_co_u32_e32 v3, vcc, v1, v3, vcc
	v_mov_b32_e32 v5, v14
	global_store_dwordx4 v[2:3], v[6:9], off
	v_lshlrev_b64 v[2:3], 4, v[4:5]
	v_mov_b32_e32 v4, v16
	v_mad_u64_u32 v[4:5], s[4:5], s13, v17, v[4:5]
	v_add_u32_e32 v6, 0x1cb, v80
	v_add_u32_e32 v7, 0xcc, v80
	v_mov_b32_e32 v16, v4
	v_mad_u64_u32 v[4:5], s[4:5], s12, v6, 0
	s_mov_b32 s3, 0xe2c4a689
	v_mul_hi_u32 v8, v7, s3
	v_mad_u64_u32 v[5:6], s[4:5], s13, v6, v[5:6]
	s_movk_i32 s2, 0x121
	v_add_co_u32_e32 v2, vcc, v0, v2
	v_lshrrev_b32_e32 v6, 8, v8
	v_addc_co_u32_e32 v3, vcc, v1, v3, vcc
	v_mad_u32_u24 v8, v6, s2, v7
	global_store_dwordx4 v[2:3], v[72:75], off
	v_lshlrev_b64 v[2:3], 4, v[15:16]
	v_mad_u64_u32 v[6:7], s[4:5], s12, v8, 0
	v_add_co_u32_e32 v2, vcc, v0, v2
	v_addc_co_u32_e32 v3, vcc, v1, v3, vcc
	global_store_dwordx4 v[2:3], v[76:79], off
	v_lshlrev_b64 v[2:3], 4, v[4:5]
	v_mov_b32_e32 v4, v7
	v_mad_u64_u32 v[4:5], s[4:5], s13, v8, v[4:5]
	v_add_co_u32_e32 v2, vcc, v0, v2
	v_addc_co_u32_e32 v3, vcc, v1, v3, vcc
	v_mov_b32_e32 v7, v4
	global_store_dwordx4 v[2:3], v[68:71], off
	v_lshlrev_b64 v[2:3], 4, v[6:7]
	v_add_u32_e32 v6, 0x121, v8
	v_mad_u64_u32 v[4:5], s[4:5], s12, v6, 0
	v_add_co_u32_e32 v2, vcc, v0, v2
	v_mad_u64_u32 v[5:6], s[4:5], s13, v6, v[5:6]
	v_add_u32_e32 v6, 0xee, v80
	v_mul_hi_u32 v7, v6, s3
	v_addc_co_u32_e32 v3, vcc, v1, v3, vcc
	global_store_dwordx4 v[2:3], v[60:63], off
	v_lshlrev_b64 v[2:3], 4, v[4:5]
	v_lshrrev_b32_e32 v4, 8, v7
	v_mad_u32_u24 v7, v4, s2, v6
	v_mad_u64_u32 v[4:5], s[2:3], s12, v7, 0
	v_add_u32_e32 v8, 0x121, v7
	v_add_co_u32_e32 v2, vcc, v0, v2
	v_mad_u64_u32 v[5:6], s[2:3], s13, v7, v[5:6]
	v_mad_u64_u32 v[6:7], s[2:3], s12, v8, 0
	v_addc_co_u32_e32 v3, vcc, v1, v3, vcc
	global_store_dwordx4 v[2:3], v[10:13], off
	v_lshlrev_b64 v[2:3], 4, v[4:5]
	v_mov_b32_e32 v4, v7
	v_mad_u64_u32 v[4:5], s[2:3], s13, v8, v[4:5]
	v_add_co_u32_e32 v2, vcc, v0, v2
	v_addc_co_u32_e32 v3, vcc, v1, v3, vcc
	v_mov_b32_e32 v7, v4
	global_store_dwordx4 v[2:3], v[24:27], off
	v_lshlrev_b64 v[2:3], 4, v[6:7]
	v_add_co_u32_e32 v2, vcc, v0, v2
	v_addc_co_u32_e32 v3, vcc, v1, v3, vcc
	global_store_dwordx4 v[2:3], v[28:31], off
	s_and_b64 exec, exec, s[0:1]
	s_cbranch_execz .LBB0_19
; %bb.18:
	v_mov_b32_e32 v94, v82
	v_lshlrev_b64 v[2:3], 4, v[93:94]
	v_mov_b32_e32 v4, s9
	v_add_co_u32_e32 v2, vcc, s8, v2
	v_addc_co_u32_e32 v3, vcc, v4, v3, vcc
	v_add_co_u32_e32 v2, vcc, 0x1000, v2
	v_addc_co_u32_e32 v3, vcc, 0, v3, vcc
	global_load_dwordx4 v[2:5], v[2:3], off offset:256
	v_add_u32_e32 v12, 0x110, v80
	v_add_u32_e32 v13, 0x231, v80
	v_mad_u64_u32 v[8:9], s[0:1], s12, v12, 0
	v_mad_u64_u32 v[10:11], s[0:1], s12, v13, 0
	s_waitcnt vmcnt(0)
	v_mul_f64 v[6:7], v[38:39], v[4:5]
	v_mul_f64 v[4:5], v[34:35], v[4:5]
	v_fma_f64 v[6:7], v[34:35], v[2:3], -v[6:7]
	v_fma_f64 v[4:5], v[38:39], v[2:3], v[4:5]
	v_mov_b32_e32 v2, v9
	v_mov_b32_e32 v3, v11
	v_mad_u64_u32 v[11:12], s[0:1], s13, v12, v[2:3]
	v_mov_b32_e32 v9, v11
	v_mad_u64_u32 v[12:13], s[0:1], s13, v13, v[3:4]
	v_add_f64 v[2:3], v[32:33], -v[6:7]
	v_add_f64 v[4:5], v[36:37], -v[4:5]
	v_mov_b32_e32 v11, v12
	v_lshlrev_b64 v[12:13], 4, v[8:9]
	v_lshlrev_b64 v[10:11], 4, v[10:11]
	v_add_co_u32_e32 v12, vcc, v0, v12
	v_addc_co_u32_e32 v13, vcc, v1, v13, vcc
	v_fma_f64 v[6:7], v[32:33], 2.0, -v[2:3]
	v_fma_f64 v[8:9], v[36:37], 2.0, -v[4:5]
	v_add_co_u32_e32 v0, vcc, v0, v10
	v_addc_co_u32_e32 v1, vcc, v1, v11, vcc
	global_store_dwordx4 v[12:13], v[6:9], off
	global_store_dwordx4 v[0:1], v[2:5], off
.LBB0_19:
	s_endpgm
	.section	.rodata,"a",@progbits
	.p2align	6, 0x0
	.amdhsa_kernel fft_rtc_fwd_len578_factors_17_17_2_wgs_238_tpt_34_halfLds_dp_ip_CI_sbrr_dirReg
		.amdhsa_group_segment_fixed_size 0
		.amdhsa_private_segment_fixed_size 12
		.amdhsa_kernarg_size 88
		.amdhsa_user_sgpr_count 6
		.amdhsa_user_sgpr_private_segment_buffer 1
		.amdhsa_user_sgpr_dispatch_ptr 0
		.amdhsa_user_sgpr_queue_ptr 0
		.amdhsa_user_sgpr_kernarg_segment_ptr 1
		.amdhsa_user_sgpr_dispatch_id 0
		.amdhsa_user_sgpr_flat_scratch_init 0
		.amdhsa_user_sgpr_private_segment_size 0
		.amdhsa_uses_dynamic_stack 0
		.amdhsa_system_sgpr_private_segment_wavefront_offset 1
		.amdhsa_system_sgpr_workgroup_id_x 1
		.amdhsa_system_sgpr_workgroup_id_y 0
		.amdhsa_system_sgpr_workgroup_id_z 0
		.amdhsa_system_sgpr_workgroup_info 0
		.amdhsa_system_vgpr_workitem_id 0
		.amdhsa_next_free_vgpr 255
		.amdhsa_next_free_sgpr 64
		.amdhsa_reserve_vcc 1
		.amdhsa_reserve_flat_scratch 0
		.amdhsa_float_round_mode_32 0
		.amdhsa_float_round_mode_16_64 0
		.amdhsa_float_denorm_mode_32 3
		.amdhsa_float_denorm_mode_16_64 3
		.amdhsa_dx10_clamp 1
		.amdhsa_ieee_mode 1
		.amdhsa_fp16_overflow 0
		.amdhsa_exception_fp_ieee_invalid_op 0
		.amdhsa_exception_fp_denorm_src 0
		.amdhsa_exception_fp_ieee_div_zero 0
		.amdhsa_exception_fp_ieee_overflow 0
		.amdhsa_exception_fp_ieee_underflow 0
		.amdhsa_exception_fp_ieee_inexact 0
		.amdhsa_exception_int_div_zero 0
	.end_amdhsa_kernel
	.text
.Lfunc_end0:
	.size	fft_rtc_fwd_len578_factors_17_17_2_wgs_238_tpt_34_halfLds_dp_ip_CI_sbrr_dirReg, .Lfunc_end0-fft_rtc_fwd_len578_factors_17_17_2_wgs_238_tpt_34_halfLds_dp_ip_CI_sbrr_dirReg
                                        ; -- End function
	.section	.AMDGPU.csdata,"",@progbits
; Kernel info:
; codeLenInByte = 17744
; NumSgprs: 68
; NumVgprs: 255
; ScratchSize: 12
; MemoryBound: 1
; FloatMode: 240
; IeeeMode: 1
; LDSByteSize: 0 bytes/workgroup (compile time only)
; SGPRBlocks: 8
; VGPRBlocks: 63
; NumSGPRsForWavesPerEU: 68
; NumVGPRsForWavesPerEU: 255
; Occupancy: 1
; WaveLimiterHint : 1
; COMPUTE_PGM_RSRC2:SCRATCH_EN: 1
; COMPUTE_PGM_RSRC2:USER_SGPR: 6
; COMPUTE_PGM_RSRC2:TRAP_HANDLER: 0
; COMPUTE_PGM_RSRC2:TGID_X_EN: 1
; COMPUTE_PGM_RSRC2:TGID_Y_EN: 0
; COMPUTE_PGM_RSRC2:TGID_Z_EN: 0
; COMPUTE_PGM_RSRC2:TIDIG_COMP_CNT: 0
	.type	__hip_cuid_b13383ce7313122e,@object ; @__hip_cuid_b13383ce7313122e
	.section	.bss,"aw",@nobits
	.globl	__hip_cuid_b13383ce7313122e
__hip_cuid_b13383ce7313122e:
	.byte	0                               ; 0x0
	.size	__hip_cuid_b13383ce7313122e, 1

	.ident	"AMD clang version 19.0.0git (https://github.com/RadeonOpenCompute/llvm-project roc-6.4.0 25133 c7fe45cf4b819c5991fe208aaa96edf142730f1d)"
	.section	".note.GNU-stack","",@progbits
	.addrsig
	.addrsig_sym __hip_cuid_b13383ce7313122e
	.amdgpu_metadata
---
amdhsa.kernels:
  - .args:
      - .actual_access:  read_only
        .address_space:  global
        .offset:         0
        .size:           8
        .value_kind:     global_buffer
      - .offset:         8
        .size:           8
        .value_kind:     by_value
      - .actual_access:  read_only
        .address_space:  global
        .offset:         16
        .size:           8
        .value_kind:     global_buffer
      - .actual_access:  read_only
        .address_space:  global
        .offset:         24
        .size:           8
        .value_kind:     global_buffer
      - .offset:         32
        .size:           8
        .value_kind:     by_value
      - .actual_access:  read_only
        .address_space:  global
        .offset:         40
        .size:           8
        .value_kind:     global_buffer
      - .actual_access:  read_only
        .address_space:  global
        .offset:         48
        .size:           8
        .value_kind:     global_buffer
      - .offset:         56
        .size:           4
        .value_kind:     by_value
      - .actual_access:  read_only
        .address_space:  global
        .offset:         64
        .size:           8
        .value_kind:     global_buffer
      - .actual_access:  read_only
        .address_space:  global
        .offset:         72
        .size:           8
        .value_kind:     global_buffer
      - .address_space:  global
        .offset:         80
        .size:           8
        .value_kind:     global_buffer
    .group_segment_fixed_size: 0
    .kernarg_segment_align: 8
    .kernarg_segment_size: 88
    .language:       OpenCL C
    .language_version:
      - 2
      - 0
    .max_flat_workgroup_size: 238
    .name:           fft_rtc_fwd_len578_factors_17_17_2_wgs_238_tpt_34_halfLds_dp_ip_CI_sbrr_dirReg
    .private_segment_fixed_size: 12
    .sgpr_count:     68
    .sgpr_spill_count: 0
    .symbol:         fft_rtc_fwd_len578_factors_17_17_2_wgs_238_tpt_34_halfLds_dp_ip_CI_sbrr_dirReg.kd
    .uniform_work_group_size: 1
    .uses_dynamic_stack: false
    .vgpr_count:     255
    .vgpr_spill_count: 2
    .wavefront_size: 64
amdhsa.target:   amdgcn-amd-amdhsa--gfx906
amdhsa.version:
  - 1
  - 2
...

	.end_amdgpu_metadata
